;; amdgpu-corpus repo=ROCm/rocFFT kind=compiled arch=gfx1030 opt=O3
	.text
	.amdgcn_target "amdgcn-amd-amdhsa--gfx1030"
	.amdhsa_code_object_version 6
	.protected	fft_rtc_back_len1782_factors_11_3_3_3_3_2_wgs_99_tpt_99_halfLds_dp_op_CI_CI_unitstride_sbrr_dirReg ; -- Begin function fft_rtc_back_len1782_factors_11_3_3_3_3_2_wgs_99_tpt_99_halfLds_dp_op_CI_CI_unitstride_sbrr_dirReg
	.globl	fft_rtc_back_len1782_factors_11_3_3_3_3_2_wgs_99_tpt_99_halfLds_dp_op_CI_CI_unitstride_sbrr_dirReg
	.p2align	8
	.type	fft_rtc_back_len1782_factors_11_3_3_3_3_2_wgs_99_tpt_99_halfLds_dp_op_CI_CI_unitstride_sbrr_dirReg,@function
fft_rtc_back_len1782_factors_11_3_3_3_3_2_wgs_99_tpt_99_halfLds_dp_op_CI_CI_unitstride_sbrr_dirReg: ; @fft_rtc_back_len1782_factors_11_3_3_3_3_2_wgs_99_tpt_99_halfLds_dp_op_CI_CI_unitstride_sbrr_dirReg
; %bb.0:
	s_clause 0x2
	s_load_dwordx4 s[12:15], s[4:5], 0x0
	s_load_dwordx4 s[8:11], s[4:5], 0x58
	;; [unrolled: 1-line block ×3, first 2 shown]
	v_mul_u32_u24_e32 v2, 0x296, v0
	v_mov_b32_e32 v1, 0
	v_mov_b32_e32 v4, 0
	;; [unrolled: 1-line block ×3, first 2 shown]
	v_add_nc_u32_sdwa v6, s6, v2 dst_sel:DWORD dst_unused:UNUSED_PAD src0_sel:DWORD src1_sel:WORD_1
	v_mov_b32_e32 v7, v1
	s_waitcnt lgkmcnt(0)
	v_cmp_lt_u64_e64 s0, s[14:15], 2
	s_and_b32 vcc_lo, exec_lo, s0
	s_cbranch_vccnz .LBB0_8
; %bb.1:
	s_load_dwordx2 s[0:1], s[4:5], 0x10
	v_mov_b32_e32 v4, 0
	v_mov_b32_e32 v5, 0
	s_add_u32 s2, s18, 8
	s_addc_u32 s3, s19, 0
	s_add_u32 s6, s16, 8
	s_addc_u32 s7, s17, 0
	v_mov_b32_e32 v121, v5
	v_mov_b32_e32 v120, v4
	s_mov_b64 s[22:23], 1
	s_waitcnt lgkmcnt(0)
	s_add_u32 s20, s0, 8
	s_addc_u32 s21, s1, 0
.LBB0_2:                                ; =>This Inner Loop Header: Depth=1
	s_load_dwordx2 s[24:25], s[20:21], 0x0
                                        ; implicit-def: $vgpr124_vgpr125
	s_mov_b32 s0, exec_lo
	s_waitcnt lgkmcnt(0)
	v_or_b32_e32 v2, s25, v7
	v_cmpx_ne_u64_e32 0, v[1:2]
	s_xor_b32 s1, exec_lo, s0
	s_cbranch_execz .LBB0_4
; %bb.3:                                ;   in Loop: Header=BB0_2 Depth=1
	v_cvt_f32_u32_e32 v2, s24
	v_cvt_f32_u32_e32 v3, s25
	s_sub_u32 s0, 0, s24
	s_subb_u32 s26, 0, s25
	v_fmac_f32_e32 v2, 0x4f800000, v3
	v_rcp_f32_e32 v2, v2
	v_mul_f32_e32 v2, 0x5f7ffffc, v2
	v_mul_f32_e32 v3, 0x2f800000, v2
	v_trunc_f32_e32 v3, v3
	v_fmac_f32_e32 v2, 0xcf800000, v3
	v_cvt_u32_f32_e32 v3, v3
	v_cvt_u32_f32_e32 v2, v2
	v_mul_lo_u32 v8, s0, v3
	v_mul_hi_u32 v9, s0, v2
	v_mul_lo_u32 v10, s26, v2
	v_add_nc_u32_e32 v8, v9, v8
	v_mul_lo_u32 v9, s0, v2
	v_add_nc_u32_e32 v8, v8, v10
	v_mul_hi_u32 v10, v2, v9
	v_mul_lo_u32 v11, v2, v8
	v_mul_hi_u32 v12, v2, v8
	v_mul_hi_u32 v13, v3, v9
	v_mul_lo_u32 v9, v3, v9
	v_mul_hi_u32 v14, v3, v8
	v_mul_lo_u32 v8, v3, v8
	v_add_co_u32 v10, vcc_lo, v10, v11
	v_add_co_ci_u32_e32 v11, vcc_lo, 0, v12, vcc_lo
	v_add_co_u32 v9, vcc_lo, v10, v9
	v_add_co_ci_u32_e32 v9, vcc_lo, v11, v13, vcc_lo
	v_add_co_ci_u32_e32 v10, vcc_lo, 0, v14, vcc_lo
	v_add_co_u32 v8, vcc_lo, v9, v8
	v_add_co_ci_u32_e32 v9, vcc_lo, 0, v10, vcc_lo
	v_add_co_u32 v2, vcc_lo, v2, v8
	v_add_co_ci_u32_e32 v3, vcc_lo, v3, v9, vcc_lo
	v_mul_hi_u32 v8, s0, v2
	v_mul_lo_u32 v10, s26, v2
	v_mul_lo_u32 v9, s0, v3
	v_add_nc_u32_e32 v8, v8, v9
	v_mul_lo_u32 v9, s0, v2
	v_add_nc_u32_e32 v8, v8, v10
	v_mul_hi_u32 v10, v2, v9
	v_mul_lo_u32 v11, v2, v8
	v_mul_hi_u32 v12, v2, v8
	v_mul_hi_u32 v13, v3, v9
	v_mul_lo_u32 v9, v3, v9
	v_mul_hi_u32 v14, v3, v8
	v_mul_lo_u32 v8, v3, v8
	v_add_co_u32 v10, vcc_lo, v10, v11
	v_add_co_ci_u32_e32 v11, vcc_lo, 0, v12, vcc_lo
	v_add_co_u32 v9, vcc_lo, v10, v9
	v_add_co_ci_u32_e32 v9, vcc_lo, v11, v13, vcc_lo
	v_add_co_ci_u32_e32 v10, vcc_lo, 0, v14, vcc_lo
	v_add_co_u32 v8, vcc_lo, v9, v8
	v_add_co_ci_u32_e32 v9, vcc_lo, 0, v10, vcc_lo
	v_add_co_u32 v8, vcc_lo, v2, v8
	v_add_co_ci_u32_e32 v10, vcc_lo, v3, v9, vcc_lo
	v_mul_hi_u32 v12, v6, v8
	v_mad_u64_u32 v[8:9], null, v7, v8, 0
	v_mad_u64_u32 v[2:3], null, v6, v10, 0
	;; [unrolled: 1-line block ×3, first 2 shown]
	v_add_co_u32 v2, vcc_lo, v12, v2
	v_add_co_ci_u32_e32 v3, vcc_lo, 0, v3, vcc_lo
	v_add_co_u32 v2, vcc_lo, v2, v8
	v_add_co_ci_u32_e32 v2, vcc_lo, v3, v9, vcc_lo
	v_add_co_ci_u32_e32 v3, vcc_lo, 0, v11, vcc_lo
	v_add_co_u32 v8, vcc_lo, v2, v10
	v_add_co_ci_u32_e32 v9, vcc_lo, 0, v3, vcc_lo
	v_mul_lo_u32 v10, s25, v8
	v_mad_u64_u32 v[2:3], null, s24, v8, 0
	v_mul_lo_u32 v11, s24, v9
	v_sub_co_u32 v2, vcc_lo, v6, v2
	v_add3_u32 v3, v3, v11, v10
	v_sub_nc_u32_e32 v10, v7, v3
	v_subrev_co_ci_u32_e64 v10, s0, s25, v10, vcc_lo
	v_add_co_u32 v11, s0, v8, 2
	v_add_co_ci_u32_e64 v12, s0, 0, v9, s0
	v_sub_co_u32 v13, s0, v2, s24
	v_sub_co_ci_u32_e32 v3, vcc_lo, v7, v3, vcc_lo
	v_subrev_co_ci_u32_e64 v10, s0, 0, v10, s0
	v_cmp_le_u32_e32 vcc_lo, s24, v13
	v_cmp_eq_u32_e64 s0, s25, v3
	v_cndmask_b32_e64 v13, 0, -1, vcc_lo
	v_cmp_le_u32_e32 vcc_lo, s25, v10
	v_cndmask_b32_e64 v14, 0, -1, vcc_lo
	v_cmp_le_u32_e32 vcc_lo, s24, v2
	;; [unrolled: 2-line block ×3, first 2 shown]
	v_cndmask_b32_e64 v15, 0, -1, vcc_lo
	v_cmp_eq_u32_e32 vcc_lo, s25, v10
	v_cndmask_b32_e64 v2, v15, v2, s0
	v_cndmask_b32_e32 v10, v14, v13, vcc_lo
	v_add_co_u32 v13, vcc_lo, v8, 1
	v_add_co_ci_u32_e32 v14, vcc_lo, 0, v9, vcc_lo
	v_cmp_ne_u32_e32 vcc_lo, 0, v10
	v_cndmask_b32_e32 v3, v14, v12, vcc_lo
	v_cndmask_b32_e32 v10, v13, v11, vcc_lo
	v_cmp_ne_u32_e32 vcc_lo, 0, v2
	v_cndmask_b32_e32 v125, v9, v3, vcc_lo
	v_cndmask_b32_e32 v124, v8, v10, vcc_lo
.LBB0_4:                                ;   in Loop: Header=BB0_2 Depth=1
	s_andn2_saveexec_b32 s0, s1
	s_cbranch_execz .LBB0_6
; %bb.5:                                ;   in Loop: Header=BB0_2 Depth=1
	v_cvt_f32_u32_e32 v2, s24
	s_sub_i32 s1, 0, s24
	v_mov_b32_e32 v125, v1
	v_rcp_iflag_f32_e32 v2, v2
	v_mul_f32_e32 v2, 0x4f7ffffe, v2
	v_cvt_u32_f32_e32 v2, v2
	v_mul_lo_u32 v3, s1, v2
	v_mul_hi_u32 v3, v2, v3
	v_add_nc_u32_e32 v2, v2, v3
	v_mul_hi_u32 v2, v6, v2
	v_mul_lo_u32 v3, v2, s24
	v_add_nc_u32_e32 v8, 1, v2
	v_sub_nc_u32_e32 v3, v6, v3
	v_subrev_nc_u32_e32 v9, s24, v3
	v_cmp_le_u32_e32 vcc_lo, s24, v3
	v_cndmask_b32_e32 v3, v3, v9, vcc_lo
	v_cndmask_b32_e32 v2, v2, v8, vcc_lo
	v_cmp_le_u32_e32 vcc_lo, s24, v3
	v_add_nc_u32_e32 v8, 1, v2
	v_cndmask_b32_e32 v124, v2, v8, vcc_lo
.LBB0_6:                                ;   in Loop: Header=BB0_2 Depth=1
	s_or_b32 exec_lo, exec_lo, s0
	v_mul_lo_u32 v8, v125, s24
	v_mul_lo_u32 v9, v124, s25
	s_load_dwordx2 s[0:1], s[6:7], 0x0
	v_mad_u64_u32 v[2:3], null, v124, s24, 0
	s_load_dwordx2 s[24:25], s[2:3], 0x0
	s_add_u32 s22, s22, 1
	s_addc_u32 s23, s23, 0
	s_add_u32 s2, s2, 8
	s_addc_u32 s3, s3, 0
	s_add_u32 s6, s6, 8
	v_add3_u32 v3, v3, v9, v8
	v_sub_co_u32 v2, vcc_lo, v6, v2
	s_addc_u32 s7, s7, 0
	s_add_u32 s20, s20, 8
	v_sub_co_ci_u32_e32 v3, vcc_lo, v7, v3, vcc_lo
	s_addc_u32 s21, s21, 0
	s_waitcnt lgkmcnt(0)
	v_mul_lo_u32 v6, s0, v3
	v_mul_lo_u32 v7, s1, v2
	v_mad_u64_u32 v[4:5], null, s0, v2, v[4:5]
	v_mul_lo_u32 v3, s24, v3
	v_mul_lo_u32 v8, s25, v2
	v_mad_u64_u32 v[120:121], null, s24, v2, v[120:121]
	v_cmp_ge_u64_e64 s0, s[22:23], s[14:15]
	v_add3_u32 v5, v7, v5, v6
	v_add3_u32 v121, v8, v121, v3
	s_and_b32 vcc_lo, exec_lo, s0
	s_cbranch_vccnz .LBB0_9
; %bb.7:                                ;   in Loop: Header=BB0_2 Depth=1
	v_mov_b32_e32 v6, v124
	v_mov_b32_e32 v7, v125
	s_branch .LBB0_2
.LBB0_8:
	v_mov_b32_e32 v121, v5
	v_mov_b32_e32 v125, v7
	;; [unrolled: 1-line block ×4, first 2 shown]
.LBB0_9:
	s_load_dwordx2 s[0:1], s[4:5], 0x28
	v_mul_hi_u32 v1, 0x295fad5, v0
	s_lshl_b64 s[4:5], s[14:15], 3
                                        ; implicit-def: $vgpr122
	s_add_u32 s2, s18, s4
	s_addc_u32 s3, s19, s5
	s_waitcnt lgkmcnt(0)
	v_cmp_gt_u64_e32 vcc_lo, s[0:1], v[124:125]
	v_cmp_le_u64_e64 s0, s[0:1], v[124:125]
	s_and_saveexec_b32 s1, s0
	s_xor_b32 s0, exec_lo, s1
; %bb.10:
	v_mul_u32_u24_e32 v1, 0x63, v1
                                        ; implicit-def: $vgpr4_vgpr5
	v_sub_nc_u32_e32 v122, v0, v1
                                        ; implicit-def: $vgpr1
                                        ; implicit-def: $vgpr0
; %bb.11:
	s_or_saveexec_b32 s1, s0
	s_load_dwordx2 s[2:3], s[2:3], 0x0
                                        ; implicit-def: $vgpr6_vgpr7
                                        ; implicit-def: $vgpr10_vgpr11
                                        ; implicit-def: $vgpr22_vgpr23
                                        ; implicit-def: $vgpr26_vgpr27
                                        ; implicit-def: $vgpr14_vgpr15
                                        ; implicit-def: $vgpr18_vgpr19
                                        ; implicit-def: $vgpr30_vgpr31
                                        ; implicit-def: $vgpr38_vgpr39
                                        ; implicit-def: $vgpr34_vgpr35
                                        ; implicit-def: $vgpr42_vgpr43
                                        ; implicit-def: $vgpr2_vgpr3
                                        ; implicit-def: $vgpr46_vgpr47
                                        ; implicit-def: $vgpr50_vgpr51
                                        ; implicit-def: $vgpr54_vgpr55
                                        ; implicit-def: $vgpr60_vgpr61
                                        ; implicit-def: $vgpr68_vgpr69
                                        ; implicit-def: $vgpr72_vgpr73
                                        ; implicit-def: $vgpr76_vgpr77
                                        ; implicit-def: $vgpr80_vgpr81
                                        ; implicit-def: $vgpr84_vgpr85
                                        ; implicit-def: $vgpr88_vgpr89
                                        ; implicit-def: $vgpr64_vgpr65
	s_xor_b32 exec_lo, exec_lo, s1
	s_cbranch_execz .LBB0_15
; %bb.12:
	s_add_u32 s4, s16, s4
	s_addc_u32 s5, s17, s5
                                        ; implicit-def: $vgpr40_vgpr41
                                        ; implicit-def: $vgpr32_vgpr33
                                        ; implicit-def: $vgpr36_vgpr37
                                        ; implicit-def: $vgpr28_vgpr29
                                        ; implicit-def: $vgpr16_vgpr17
                                        ; implicit-def: $vgpr12_vgpr13
                                        ; implicit-def: $vgpr24_vgpr25
                                        ; implicit-def: $vgpr20_vgpr21
                                        ; implicit-def: $vgpr8_vgpr9
	s_load_dwordx2 s[4:5], s[4:5], 0x0
	s_waitcnt lgkmcnt(0)
	v_mul_lo_u32 v6, s5, v124
	v_mul_lo_u32 v7, s4, v125
	v_mad_u64_u32 v[2:3], null, s4, v124, 0
	s_mov_b32 s4, exec_lo
	v_add3_u32 v3, v3, v7, v6
	v_mul_u32_u24_e32 v6, 0x63, v1
	v_lshlrev_b64 v[1:2], 4, v[2:3]
	v_lshlrev_b64 v[3:4], 4, v[4:5]
	v_sub_nc_u32_e32 v122, v0, v6
	v_add_co_u32 v0, s0, s8, v1
	v_add_co_ci_u32_e64 v1, s0, s9, v2, s0
	v_lshlrev_b32_e32 v2, 4, v122
	v_add_co_u32 v0, s0, v0, v3
	v_add_co_ci_u32_e64 v1, s0, v1, v4, s0
                                        ; implicit-def: $vgpr4_vgpr5
	v_add_co_u32 v6, s0, v0, v2
	v_add_co_ci_u32_e64 v7, s0, 0, v1, s0
	v_add_co_u32 v0, s0, 0x800, v6
	v_add_co_ci_u32_e64 v1, s0, 0, v7, s0
	;; [unrolled: 2-line block ×9, first 2 shown]
	s_clause 0x5
	global_load_dwordx4 v[62:65], v[6:7], off
	global_load_dwordx4 v[86:89], v[0:1], off offset:544
	global_load_dwordx4 v[82:85], v[30:31], off offset:1088
	;; [unrolled: 1-line block ×5, first 2 shown]
	v_add_co_u32 v0, s0, 0x5800, v6
	v_add_co_ci_u32_e64 v1, s0, 0, v7, s0
	v_add_co_u32 v56, s0, 0x6000, v6
	v_add_co_ci_u32_e64 v57, s0, 0, v7, s0
	s_clause 0x4
	global_load_dwordx4 v[66:69], v[26:27], off offset:1216
	global_load_dwordx4 v[58:61], v[22:23], off offset:1760
	global_load_dwordx4 v[52:55], v[10:11], off offset:256
	global_load_dwordx4 v[48:51], v[0:1], off offset:800
	global_load_dwordx4 v[44:47], v[56:57], off offset:1344
                                        ; implicit-def: $vgpr0_vgpr1
	v_cmpx_gt_u32_e32 63, v122
; %bb.13:
	v_add_co_u32 v4, s0, 0x2000, v6
	v_add_co_ci_u32_e64 v5, s0, 0, v7, s0
	v_add_co_u32 v8, s0, 0x4800, v6
	v_add_co_ci_u32_e64 v9, s0, 0, v7, s0
	s_clause 0x1
	global_load_dwordx4 v[0:3], v[6:7], off offset:1584
	global_load_dwordx4 v[40:43], v[30:31], off offset:80
	v_add_co_u32 v6, s0, 0x6800, v6
	v_add_co_ci_u32_e64 v7, s0, 0, v7, s0
	s_clause 0x8
	global_load_dwordx4 v[32:35], v[18:19], off offset:624
	global_load_dwordx4 v[28:31], v[14:15], off offset:1712
	;; [unrolled: 1-line block ×9, first 2 shown]
; %bb.14:
	s_or_b32 exec_lo, exec_lo, s4
.LBB0_15:
	s_or_b32 exec_lo, exec_lo, s1
	s_waitcnt vmcnt(9)
	v_add_f64 v[56:57], v[86:87], v[62:63]
	s_waitcnt vmcnt(0)
	v_add_f64 v[90:91], v[88:89], -v[46:47]
	s_mov_b32 s24, 0xf8bb580b
	s_mov_b32 s30, 0x8eee2c13
	;; [unrolled: 1-line block ×10, first 2 shown]
	v_add_f64 v[92:93], v[44:45], v[86:87]
	v_add_f64 v[94:95], v[84:85], -v[50:51]
	s_mov_b32 s8, 0x8764f0ba
	s_mov_b32 s4, 0xd9c712b6
	;; [unrolled: 1-line block ×8, first 2 shown]
	v_add_f64 v[56:57], v[82:83], v[56:57]
	v_mul_f64 v[110:111], v[90:91], s[24:25]
	v_mul_f64 v[112:113], v[90:91], s[30:31]
	;; [unrolled: 1-line block ×5, first 2 shown]
	s_mov_b32 s35, 0x3fefac9e
	s_mov_b32 s29, 0x3fe14ced
	s_mov_b32 s16, 0x9bcd5057
	s_mov_b32 s36, s26
	s_mov_b32 s34, s18
	s_mov_b32 s28, s24
	s_mov_b32 s15, 0xbfe4f49e
	s_mov_b32 s17, 0xbfeeb42a
	v_add_f64 v[96:97], v[48:49], v[82:83]
	v_add_f64 v[98:99], v[80:81], -v[54:55]
	v_mul_f64 v[118:119], v[94:95], s[30:31]
	v_mul_f64 v[126:127], v[94:95], s[22:23]
	v_mul_f64 v[128:129], v[94:95], s[36:37]
	v_mul_f64 v[130:131], v[94:95], s[34:35]
	v_mul_f64 v[94:95], v[94:95], s[28:29]
	s_mov_b32 s21, 0x3fed1bb4
	v_add_f64 v[56:57], v[78:79], v[56:57]
	v_fma_f64 v[152:153], v[92:93], s[8:9], v[110:111]
	v_fma_f64 v[154:155], v[92:93], s[4:5], v[112:113]
	v_fma_f64 v[112:113], v[92:93], s[4:5], -v[112:113]
	v_fma_f64 v[156:157], v[92:93], s[6:7], v[114:115]
	v_fma_f64 v[158:159], v[92:93], s[14:15], v[116:117]
	v_fma_f64 v[116:117], v[92:93], s[14:15], -v[116:117]
	v_fma_f64 v[160:161], v[92:93], s[16:17], v[90:91]
	v_fma_f64 v[90:91], v[92:93], s[16:17], -v[90:91]
	v_fma_f64 v[114:115], v[92:93], s[6:7], -v[114:115]
	;; [unrolled: 1-line block ×3, first 2 shown]
	s_mov_b32 s20, s30
	v_add_f64 v[100:101], v[52:53], v[78:79]
	v_add_f64 v[102:103], v[76:77], -v[60:61]
	v_add_f64 v[104:105], v[58:59], v[74:75]
	v_mul_f64 v[132:133], v[98:99], s[18:19]
	v_mul_f64 v[134:135], v[98:99], s[36:37]
	;; [unrolled: 1-line block ×5, first 2 shown]
	v_fma_f64 v[162:163], v[96:97], s[4:5], v[118:119]
	v_fma_f64 v[118:119], v[96:97], s[4:5], -v[118:119]
	v_add_f64 v[56:57], v[74:75], v[56:57]
	v_fma_f64 v[164:165], v[96:97], s[14:15], v[126:127]
	v_fma_f64 v[126:127], v[96:97], s[14:15], -v[126:127]
	v_fma_f64 v[166:167], v[96:97], s[16:17], v[128:129]
	v_fma_f64 v[128:129], v[96:97], s[16:17], -v[128:129]
	;; [unrolled: 2-line block ×4, first 2 shown]
	v_add_f64 v[96:97], v[62:63], v[152:153]
	v_add_f64 v[152:153], v[62:63], v[154:155]
	;; [unrolled: 1-line block ×10, first 2 shown]
	v_add_f64 v[106:107], v[72:73], -v[68:69]
	v_mul_f64 v[140:141], v[102:103], s[22:23]
	v_mul_f64 v[142:143], v[102:103], s[34:35]
	v_add_f64 v[56:57], v[70:71], v[56:57]
	v_mul_f64 v[144:145], v[102:103], s[24:25]
	v_fma_f64 v[160:161], v[100:101], s[6:7], v[132:133]
	v_fma_f64 v[132:133], v[100:101], s[6:7], -v[132:133]
	v_fma_f64 v[172:173], v[100:101], s[16:17], v[134:135]
	v_fma_f64 v[134:135], v[100:101], s[16:17], -v[134:135]
	;; [unrolled: 2-line block ×5, first 2 shown]
	v_add_f64 v[96:97], v[162:163], v[96:97]
	v_add_f64 v[100:101], v[164:165], v[152:153]
	;; [unrolled: 1-line block ×4, first 2 shown]
	v_mul_f64 v[146:147], v[102:103], s[26:27]
	v_mul_f64 v[102:103], v[102:103], s[20:21]
	v_add_f64 v[152:153], v[168:169], v[156:157]
	v_add_f64 v[116:117], v[130:131], v[116:117]
	;; [unrolled: 1-line block ×8, first 2 shown]
	v_mul_f64 v[148:149], v[106:107], s[26:27]
	v_mul_f64 v[150:151], v[106:107], s[28:29]
	;; [unrolled: 1-line block ×5, first 2 shown]
	v_fma_f64 v[114:115], v[104:105], s[14:15], v[140:141]
	v_fma_f64 v[118:119], v[104:105], s[6:7], v[142:143]
	v_fma_f64 v[128:129], v[104:105], s[6:7], -v[142:143]
	v_fma_f64 v[142:143], v[104:105], s[8:9], v[144:145]
	v_add_f64 v[96:97], v[160:161], v[96:97]
	v_add_f64 v[100:101], v[172:173], v[100:101]
	;; [unrolled: 1-line block ×4, first 2 shown]
	v_fma_f64 v[154:155], v[104:105], s[16:17], v[146:147]
	v_fma_f64 v[156:157], v[104:105], s[4:5], v[102:103]
	v_add_f64 v[134:135], v[176:177], v[152:153]
	v_add_f64 v[130:131], v[178:179], v[130:131]
	v_fma_f64 v[146:147], v[104:105], s[16:17], -v[146:147]
	v_add_f64 v[56:57], v[58:59], v[56:57]
	v_fma_f64 v[102:103], v[104:105], s[4:5], -v[102:103]
	v_add_f64 v[116:117], v[138:139], v[116:117]
	v_add_f64 v[90:91], v[98:99], v[90:91]
	v_fma_f64 v[140:141], v[104:105], s[14:15], -v[140:141]
	v_fma_f64 v[104:105], v[104:105], s[8:9], -v[144:145]
	v_add_f64 v[94:95], v[136:137], v[94:95]
	v_add_f64 v[62:63], v[132:133], v[62:63]
	v_fma_f64 v[98:99], v[108:109], s[16:17], v[148:149]
	v_fma_f64 v[132:133], v[108:109], s[16:17], -v[148:149]
	v_fma_f64 v[136:137], v[108:109], s[8:9], v[150:151]
	v_fma_f64 v[138:139], v[108:109], s[8:9], -v[150:151]
	;; [unrolled: 2-line block ×5, first 2 shown]
	v_add_f64 v[96:97], v[114:115], v[96:97]
	v_add_f64 v[100:101], v[118:119], v[100:101]
	;; [unrolled: 1-line block ×9, first 2 shown]
	v_cmp_gt_u32_e64 s0, 63, v122
	v_add_f64 v[94:95], v[104:105], v[94:95]
	v_add_f64 v[62:63], v[140:141], v[62:63]
	;; [unrolled: 1-line block ×11, first 2 shown]
	v_mad_u32_u24 v90, 0x58, v122, 0
	v_add_f64 v[94:95], v[110:111], v[94:95]
	v_add_f64 v[62:63], v[132:133], v[62:63]
	;; [unrolled: 1-line block ×3, first 2 shown]
	ds_write2_b64 v90, v[98:99], v[102:103] offset0:2 offset1:3
	ds_write2_b64 v90, v[104:105], v[108:109] offset0:4 offset1:5
	;; [unrolled: 1-line block ×4, first 2 shown]
	ds_write2_b64 v90, v[56:57], v[96:97] offset1:1
	ds_write_b64 v90, v[62:63] offset:80
	s_and_saveexec_b32 s1, s0
	s_cbranch_execz .LBB0_17
; %bb.16:
	v_add_f64 v[56:57], v[40:41], v[0:1]
	v_add_f64 v[91:92], v[4:5], v[40:41]
	;; [unrolled: 1-line block ×3, first 2 shown]
	v_add_f64 v[107:108], v[42:43], -v[6:7]
	s_mov_b32 s39, 0x3fe82f19
	s_mov_b32 s38, s22
	v_add_f64 v[95:96], v[20:21], v[36:37]
	v_add_f64 v[105:106], v[34:35], -v[10:11]
	v_add_f64 v[93:94], v[24:25], v[28:29]
	v_add_f64 v[103:104], v[38:39], -v[22:23]
	;; [unrolled: 2-line block ×3, first 2 shown]
	v_add_f64 v[99:100], v[18:19], -v[14:15]
	v_add_f64 v[56:57], v[32:33], v[56:57]
	v_mul_f64 v[111:112], v[91:92], s[16:17]
	v_mul_f64 v[115:116], v[91:92], s[14:15]
	;; [unrolled: 1-line block ×21, first 2 shown]
	v_add_f64 v[56:57], v[36:37], v[56:57]
	v_fma_f64 v[156:157], v[107:108], s[36:37], v[111:112]
	v_fma_f64 v[111:112], v[107:108], s[26:27], v[111:112]
	;; [unrolled: 1-line block ×21, first 2 shown]
	v_add_f64 v[56:57], v[28:29], v[56:57]
	v_add_f64 v[105:106], v[0:1], v[156:157]
	;; [unrolled: 1-line block ×11, first 2 shown]
	v_mul_f64 v[91:92], v[93:94], s[14:15]
	v_fma_f64 v[93:94], v[103:104], s[38:39], v[117:118]
	v_fma_f64 v[117:118], v[103:104], s[22:23], v[117:118]
	;; [unrolled: 1-line block ×9, first 2 shown]
	v_mul_f64 v[140:141], v[62:63], s[14:15]
	v_add_f64 v[56:57], v[16:17], v[56:57]
	v_add_f64 v[103:104], v[107:108], v[105:106]
	;; [unrolled: 1-line block ×11, first 2 shown]
	v_mul_f64 v[148:149], v[62:63], s[8:9]
	v_mul_f64 v[62:63], v[62:63], s[16:17]
	v_fma_f64 v[138:139], v[101:102], s[30:31], v[113:114]
	v_fma_f64 v[113:114], v[101:102], s[20:21], v[113:114]
	;; [unrolled: 1-line block ×9, first 2 shown]
	v_add_f64 v[56:57], v[12:13], v[56:57]
	v_fma_f64 v[91:92], v[101:102], s[22:23], v[91:92]
	v_add_f64 v[93:94], v[93:94], v[103:104]
	v_add_f64 v[101:102], v[117:118], v[105:106]
	;; [unrolled: 1-line block ×10, first 2 shown]
	v_fma_f64 v[97:98], v[99:100], s[34:35], v[109:110]
	v_fma_f64 v[109:110], v[99:100], s[18:19], v[109:110]
	;; [unrolled: 1-line block ×10, first 2 shown]
	v_add_f64 v[56:57], v[24:25], v[56:57]
	v_add_f64 v[93:94], v[138:139], v[93:94]
	v_add_f64 v[99:100], v[113:114], v[101:102]
	v_add_f64 v[101:102], v[146:147], v[103:104]
	v_add_f64 v[103:104], v[134:135], v[105:106]
	v_add_f64 v[105:106], v[142:143], v[107:108]
	v_add_f64 v[107:108], v[152:153], v[111:112]
	v_add_f64 v[111:112], v[150:151], v[115:116]
	v_add_f64 v[113:114], v[156:157], v[117:118]
	v_add_f64 v[91:92], v[91:92], v[95:96]
	v_add_f64 v[0:1], v[158:159], v[0:1]
	v_add_f64 v[56:57], v[20:21], v[56:57]
	v_add_f64 v[93:94], v[97:98], v[93:94]
	v_add_f64 v[95:96], v[109:110], v[99:100]
	v_add_f64 v[97:98], v[126:127], v[101:102]
	v_add_f64 v[99:100], v[128:129], v[103:104]
	v_add_f64 v[101:102], v[132:133], v[105:106]
	v_add_f64 v[103:104], v[140:141], v[107:108]
	v_add_f64 v[105:106], v[130:131], v[111:112]
	v_add_f64 v[107:108], v[136:137], v[113:114]
	v_add_f64 v[62:63], v[62:63], v[91:92]
	v_add_f64 v[0:1], v[144:145], v[0:1]
	v_add_nc_u32_e32 v91, 0x2218, v90
	v_add_nc_u32_e32 v92, 0x2228, v90
	;; [unrolled: 1-line block ×5, first 2 shown]
	v_add_f64 v[56:57], v[8:9], v[56:57]
	v_add_f64 v[56:57], v[4:5], v[56:57]
	ds_write2_b64 v91, v[103:104], v[101:102] offset1:1
	ds_write2_b64 v92, v[99:100], v[95:96] offset1:1
	;; [unrolled: 1-line block ×5, first 2 shown]
	ds_write_b64 v90, v[0:1] offset:8792
.LBB0_17:
	s_or_b32 exec_lo, exec_lo, s1
	v_add_f64 v[0:1], v[88:89], v[64:65]
	v_add_f64 v[44:45], v[86:87], -v[44:45]
	v_add_f64 v[48:49], v[82:83], -v[48:49]
	v_add_f64 v[62:63], v[46:47], v[88:89]
	v_add_f64 v[66:67], v[70:71], -v[66:67]
	v_add_f64 v[82:83], v[50:51], v[84:85]
	;; [unrolled: 2-line block ×3, first 2 shown]
	v_add_f64 v[74:75], v[74:75], -v[58:59]
	v_mad_i32_i24 v131, 0xffffffb0, v122, v90
	s_waitcnt lgkmcnt(0)
	s_barrier
	buffer_gl0_inv
	v_add_nc_u32_e32 v123, 0x1000, v131
	v_add_nc_u32_e32 v130, 0x2400, v131
	ds_read2_b64 v[56:59], v131 offset1:99
	v_add_f64 v[0:1], v[84:85], v[0:1]
	v_mul_f64 v[70:71], v[44:45], s[24:25]
	v_mul_f64 v[86:87], v[44:45], s[30:31]
	;; [unrolled: 1-line block ×10, first 2 shown]
	v_add_f64 v[84:85], v[54:55], v[80:81]
	v_mul_f64 v[101:102], v[52:53], s[36:37]
	v_mul_f64 v[103:104], v[52:53], s[20:21]
	;; [unrolled: 1-line block ×10, first 2 shown]
	v_add_f64 v[0:1], v[80:81], v[0:1]
	v_fma_f64 v[126:127], v[62:63], s[8:9], -v[70:71]
	v_fma_f64 v[128:129], v[62:63], s[4:5], -v[86:87]
	v_fma_f64 v[86:87], v[62:63], s[4:5], v[86:87]
	v_fma_f64 v[132:133], v[62:63], s[6:7], -v[88:89]
	v_fma_f64 v[134:135], v[62:63], s[14:15], -v[91:92]
	v_fma_f64 v[91:92], v[62:63], s[14:15], v[91:92]
	v_fma_f64 v[136:137], v[62:63], s[16:17], -v[44:45]
	v_fma_f64 v[44:45], v[62:63], s[16:17], v[44:45]
	v_fma_f64 v[88:89], v[62:63], s[6:7], v[88:89]
	;; [unrolled: 1-line block ×3, first 2 shown]
	v_add_f64 v[80:81], v[68:69], v[72:73]
	v_fma_f64 v[138:139], v[82:83], s[14:15], -v[95:96]
	v_fma_f64 v[95:96], v[82:83], s[14:15], v[95:96]
	v_fma_f64 v[140:141], v[82:83], s[16:17], -v[97:98]
	v_fma_f64 v[97:98], v[82:83], s[16:17], v[97:98]
	;; [unrolled: 2-line block ×5, first 2 shown]
	v_add_f64 v[0:1], v[76:77], v[0:1]
	v_mul_f64 v[76:77], v[52:53], s[18:19]
	v_mul_f64 v[52:53], v[52:53], s[22:23]
	v_add_f64 v[86:87], v[64:65], v[86:87]
	v_fma_f64 v[148:149], v[84:85], s[8:9], -v[105:106]
	v_fma_f64 v[105:106], v[84:85], s[8:9], v[105:106]
	v_add_f64 v[91:92], v[64:65], v[91:92]
	v_mul_f64 v[70:71], v[66:67], s[22:23]
	v_add_f64 v[44:45], v[64:65], v[44:45]
	v_add_f64 v[88:89], v[64:65], v[88:89]
	;; [unrolled: 1-line block ×4, first 2 shown]
	v_fma_f64 v[72:73], v[82:83], s[4:5], -v[93:94]
	v_fma_f64 v[93:94], v[82:83], s[4:5], v[93:94]
	v_add_f64 v[82:83], v[64:65], v[126:127]
	v_add_f64 v[126:127], v[64:65], v[128:129]
	;; [unrolled: 1-line block ×5, first 2 shown]
	v_fma_f64 v[136:137], v[84:85], s[16:17], -v[101:102]
	v_fma_f64 v[101:102], v[84:85], s[16:17], v[101:102]
	v_fma_f64 v[150:151], v[84:85], s[14:15], -v[52:53]
	v_fma_f64 v[52:53], v[84:85], s[14:15], v[52:53]
	v_add_f64 v[91:92], v[99:100], v[91:92]
	v_add_f64 v[44:45], v[48:49], v[44:45]
	;; [unrolled: 1-line block ×3, first 2 shown]
	v_mul_f64 v[64:65], v[66:67], s[20:21]
	v_fma_f64 v[88:89], v[78:79], s[14:15], v[107:108]
	v_fma_f64 v[97:98], v[78:79], s[6:7], v[109:110]
	v_add_f64 v[0:1], v[68:69], v[0:1]
	v_fma_f64 v[68:69], v[84:85], s[6:7], -v[76:77]
	v_fma_f64 v[76:77], v[84:85], s[6:7], v[76:77]
	v_add_f64 v[72:73], v[72:73], v[82:83]
	v_add_f64 v[82:83], v[138:139], v[126:127]
	;; [unrolled: 1-line block ×6, first 2 shown]
	v_fma_f64 v[126:127], v[78:79], s[4:5], -v[74:75]
	v_fma_f64 v[74:75], v[78:79], s[4:5], v[74:75]
	v_add_nc_u32_e32 v133, 0x400, v131
	v_add_nc_u32_e32 v134, 0x1800, v131
	v_add_f64 v[44:45], v[52:53], v[44:45]
	v_add_f64 v[48:49], v[103:104], v[48:49]
	v_fma_f64 v[103:104], v[80:81], s[14:15], -v[70:71]
	v_add_nc_u32_e32 v135, 0x1c00, v131
	v_add_nc_u32_e32 v132, 0x2800, v131
	v_add_f64 v[0:1], v[60:61], v[0:1]
	v_add_f64 v[60:61], v[93:94], v[62:63]
	v_mul_f64 v[62:63], v[66:67], s[18:19]
	v_fma_f64 v[66:67], v[78:79], s[14:15], -v[107:108]
	v_fma_f64 v[93:94], v[78:79], s[6:7], -v[109:110]
	;; [unrolled: 1-line block ×3, first 2 shown]
	v_add_f64 v[68:69], v[68:69], v[72:73]
	v_add_f64 v[72:73], v[136:137], v[82:83]
	;; [unrolled: 1-line block ×3, first 2 shown]
	v_fma_f64 v[109:110], v[78:79], s[8:9], v[111:112]
	v_fma_f64 v[111:112], v[78:79], s[16:17], -v[113:114]
	v_fma_f64 v[113:114], v[78:79], s[16:17], v[113:114]
	v_add_f64 v[78:79], v[101:102], v[84:85]
	v_add_f64 v[84:85], v[148:149], v[95:96]
	;; [unrolled: 1-line block ×4, first 2 shown]
	v_fma_f64 v[99:100], v[80:81], s[8:9], -v[117:118]
	v_fma_f64 v[95:96], v[80:81], s[16:17], v[115:116]
	v_fma_f64 v[101:102], v[80:81], s[8:9], v[117:118]
	;; [unrolled: 1-line block ×4, first 2 shown]
	v_add_f64 v[44:45], v[74:75], v[44:45]
	v_add_f64 v[0:1], v[54:55], v[0:1]
	;; [unrolled: 1-line block ×3, first 2 shown]
	v_fma_f64 v[76:77], v[80:81], s[16:17], -v[115:116]
	v_fma_f64 v[115:116], v[80:81], s[4:5], -v[64:65]
	v_fma_f64 v[128:129], v[80:81], s[6:7], -v[62:63]
	v_fma_f64 v[80:81], v[80:81], s[6:7], v[62:63]
	v_add_f64 v[138:139], v[66:67], v[68:69]
	v_add_f64 v[72:73], v[93:94], v[72:73]
	;; [unrolled: 1-line block ×4, first 2 shown]
	v_add_nc_u32_e32 v137, 0x800, v131
	v_add_nc_u32_e32 v136, 0x3000, v131
	v_add_f64 v[78:79], v[97:98], v[78:79]
	v_add_f64 v[84:85], v[111:112], v[84:85]
	;; [unrolled: 1-line block ×6, first 2 shown]
	ds_read2_b64 v[52:55], v123 offset0:82 offset1:181
	ds_read2_b64 v[60:63], v130 offset0:36 offset1:135
	;; [unrolled: 1-line block ×5, first 2 shown]
	v_add_f64 v[80:81], v[80:81], v[44:45]
	v_add_f64 v[93:94], v[76:77], v[138:139]
	;; [unrolled: 1-line block ×4, first 2 shown]
	v_add_nc_u32_e32 v138, 0x63, v122
	v_add_f64 v[99:100], v[101:102], v[78:79]
	v_add_f64 v[84:85], v[115:116], v[84:85]
	;; [unrolled: 1-line block ×6, first 2 shown]
	ds_read2_b64 v[44:47], v137 offset0:140 offset1:239
	ds_read2_b64 v[76:79], v135 offset0:94 offset1:193
	;; [unrolled: 1-line block ×3, first 2 shown]
	v_add_f64 v[88:89], v[95:96], v[88:89]
	s_waitcnt lgkmcnt(0)
	s_barrier
	buffer_gl0_inv
	ds_write2_b64 v90, v[97:98], v[82:83] offset0:2 offset1:3
	ds_write2_b64 v90, v[84:85], v[91:92] offset0:4 offset1:5
	;; [unrolled: 1-line block ×4, first 2 shown]
	ds_write2_b64 v90, v[0:1], v[93:94] offset1:1
	ds_write_b64 v90, v[88:89] offset:80
	s_and_saveexec_b32 s28, s0
	s_cbranch_execz .LBB0_19
; %bb.18:
	v_add_f64 v[0:1], v[42:43], v[2:3]
	v_add_f64 v[4:5], v[40:41], -v[4:5]
	s_mov_b32 s20, 0xf8bb580b
	s_mov_b32 s21, 0xbfe14ced
	;; [unrolled: 1-line block ×6, first 2 shown]
	v_add_f64 v[42:43], v[6:7], v[42:43]
	v_add_f64 v[8:9], v[32:33], -v[8:9]
	v_add_f64 v[32:33], v[10:11], v[34:35]
	v_add_f64 v[12:13], v[16:17], -v[12:13]
	s_mov_b32 s0, 0x8764f0ba
	s_mov_b32 s1, 0x3feaeb8c
	;; [unrolled: 1-line block ×8, first 2 shown]
	v_add_f64 v[20:21], v[36:37], -v[20:21]
	v_add_f64 v[36:37], v[26:27], v[30:31]
	v_add_f64 v[0:1], v[34:35], v[0:1]
	;; [unrolled: 1-line block ×3, first 2 shown]
	v_mul_f64 v[16:17], v[4:5], s[20:21]
	v_mul_f64 v[40:41], v[4:5], s[18:19]
	;; [unrolled: 1-line block ×3, first 2 shown]
	v_add_f64 v[24:25], v[28:29], -v[24:25]
	v_add_f64 v[28:29], v[14:15], v[18:19]
	v_mul_f64 v[82:83], v[8:9], s[8:9]
	v_mul_f64 v[84:85], v[8:9], s[22:23]
	;; [unrolled: 1-line block ×11, first 2 shown]
	v_add_f64 v[0:1], v[38:39], v[0:1]
	v_mul_f64 v[38:39], v[4:5], s[8:9]
	v_mul_f64 v[4:5], v[4:5], s[24:25]
	v_fma_f64 v[112:113], v[42:43], s[0:1], -v[16:17]
	v_fma_f64 v[116:117], v[42:43], s[6:7], -v[40:41]
	v_fma_f64 v[118:119], v[42:43], s[14:15], -v[80:81]
	v_fma_f64 v[80:81], v[42:43], s[14:15], v[80:81]
	v_fma_f64 v[40:41], v[42:43], s[6:7], v[40:41]
	;; [unrolled: 1-line block ×3, first 2 shown]
	s_mov_b32 s9, 0x3fed1bb4
	v_mul_f64 v[94:95], v[20:21], s[22:23]
	v_fma_f64 v[128:129], v[32:33], s[16:17], -v[86:87]
	v_fma_f64 v[86:87], v[32:33], s[16:17], v[86:87]
	v_fma_f64 v[139:140], v[32:33], s[6:7], -v[88:89]
	v_fma_f64 v[88:89], v[32:33], s[6:7], v[88:89]
	;; [unrolled: 2-line block ×3, first 2 shown]
	v_mul_f64 v[96:97], v[24:25], s[22:23]
	v_mul_f64 v[98:99], v[24:25], s[30:31]
	;; [unrolled: 1-line block ×5, first 2 shown]
	v_add_f64 v[0:1], v[30:31], v[0:1]
	v_fma_f64 v[114:115], v[42:43], s[4:5], -v[38:39]
	v_fma_f64 v[38:39], v[42:43], s[4:5], v[38:39]
	v_fma_f64 v[126:127], v[42:43], s[16:17], -v[4:5]
	v_fma_f64 v[4:5], v[42:43], s[16:17], v[4:5]
	v_mul_f64 v[30:31], v[20:21], s[26:27]
	v_fma_f64 v[42:43], v[32:33], s[4:5], v[82:83]
	v_add_f64 v[80:81], v[2:3], v[80:81]
	v_add_f64 v[40:41], v[2:3], v[40:41]
	v_fma_f64 v[143:144], v[34:35], s[14:15], -v[94:95]
	v_fma_f64 v[94:95], v[34:35], s[14:15], v[94:95]
	v_add_f64 v[0:1], v[18:19], v[0:1]
	v_mul_f64 v[18:19], v[20:21], s[8:9]
	v_fma_f64 v[20:21], v[32:33], s[4:5], -v[82:83]
	v_fma_f64 v[82:83], v[32:33], s[14:15], -v[84:85]
	v_fma_f64 v[84:85], v[32:33], s[14:15], v[84:85]
	v_add_f64 v[32:33], v[2:3], v[112:113]
	v_add_f64 v[112:113], v[2:3], v[114:115]
	;; [unrolled: 1-line block ×8, first 2 shown]
	v_fma_f64 v[16:17], v[34:35], s[6:7], -v[90:91]
	v_fma_f64 v[126:127], v[34:35], s[0:1], -v[92:93]
	v_fma_f64 v[92:93], v[34:35], s[0:1], v[92:93]
	v_add_f64 v[80:81], v[88:89], v[80:81]
	v_fma_f64 v[88:89], v[36:37], s[0:1], -v[100:101]
	v_add_f64 v[0:1], v[14:15], v[0:1]
	v_mul_f64 v[14:15], v[24:25], s[8:9]
	v_fma_f64 v[24:25], v[34:35], s[6:7], v[90:91]
	v_fma_f64 v[90:91], v[34:35], s[16:17], -v[30:31]
	v_fma_f64 v[30:31], v[34:35], s[16:17], v[30:31]
	v_fma_f64 v[145:146], v[34:35], s[4:5], -v[18:19]
	v_fma_f64 v[18:19], v[34:35], s[4:5], v[18:19]
	v_add_f64 v[20:21], v[20:21], v[32:33]
	v_add_f64 v[32:33], v[82:83], v[112:113]
	;; [unrolled: 1-line block ×9, first 2 shown]
	v_fma_f64 v[42:43], v[36:37], s[6:7], -v[98:99]
	v_fma_f64 v[40:41], v[36:37], s[14:15], v[96:97]
	v_fma_f64 v[86:87], v[36:37], s[6:7], v[98:99]
	v_fma_f64 v[98:99], v[36:37], s[16:17], -v[102:103]
	v_add_f64 v[0:1], v[26:27], v[0:1]
	v_fma_f64 v[26:27], v[36:37], s[14:15], -v[96:97]
	v_fma_f64 v[96:97], v[36:37], s[0:1], v[100:101]
	v_fma_f64 v[100:101], v[36:37], s[16:17], v[102:103]
	v_fma_f64 v[102:103], v[36:37], s[4:5], -v[14:15]
	v_fma_f64 v[14:15], v[36:37], s[4:5], v[14:15]
	v_add_f64 v[36:37], v[92:93], v[80:81]
	v_add_f64 v[16:17], v[16:17], v[20:21]
	;; [unrolled: 1-line block ×10, first 2 shown]
	v_fma_f64 v[18:19], v[28:29], s[16:17], -v[104:105]
	v_fma_f64 v[24:25], v[28:29], s[0:1], -v[106:107]
	v_fma_f64 v[80:81], v[28:29], s[0:1], v[106:107]
	v_fma_f64 v[82:83], v[28:29], s[14:15], -v[108:109]
	v_fma_f64 v[84:85], v[28:29], s[14:15], v[108:109]
	v_fma_f64 v[90:91], v[28:29], s[6:7], -v[110:111]
	v_add_f64 v[0:1], v[22:23], v[0:1]
	v_fma_f64 v[22:23], v[28:29], s[16:17], v[104:105]
	v_fma_f64 v[92:93], v[28:29], s[6:7], v[110:111]
	v_fma_f64 v[94:95], v[28:29], s[4:5], -v[12:13]
	v_fma_f64 v[12:13], v[28:29], s[4:5], v[12:13]
	v_add_f64 v[16:17], v[26:27], v[16:17]
	v_add_f64 v[20:21], v[42:43], v[20:21]
	;; [unrolled: 1-line block ×22, first 2 shown]
	v_mad_u32_u24 v6, 0x58, v138, 0
	ds_write2_b64 v6, v[14:15], v[18:19] offset0:2 offset1:3
	ds_write2_b64 v6, v[20:21], v[24:25] offset0:4 offset1:5
	;; [unrolled: 1-line block ×4, first 2 shown]
	ds_write2_b64 v6, v[0:1], v[10:11] offset1:1
	ds_write_b64 v6, v[2:3] offset:80
.LBB0_19:
	s_or_b32 exec_lo, exec_lo, s28
	v_add_nc_u32_e32 v126, 0xc6, v122
	v_mov_b32_e32 v0, 0xba2f
	v_and_b32_e32 v141, 0xff, v122
	v_add_nc_u32_e32 v127, 0x129, v122
	v_and_b32_e32 v142, 0xff, v138
	v_add_nc_u32_e32 v128, 0x18c, v122
	v_mul_u32_u24_sdwa v1, v126, v0 dst_sel:DWORD dst_unused:UNUSED_PAD src0_sel:WORD_0 src1_sel:DWORD
	v_add_nc_u32_e32 v129, 0x1ef, v122
	v_mul_u32_u24_sdwa v4, v127, v0 dst_sel:DWORD dst_unused:UNUSED_PAD src0_sel:WORD_0 src1_sel:DWORD
	v_mul_lo_u16 v2, 0x75, v142
	v_mul_u32_u24_sdwa v5, v128, v0 dst_sel:DWORD dst_unused:UNUSED_PAD src0_sel:WORD_0 src1_sel:DWORD
	v_lshrrev_b32_e32 v145, 19, v1
	v_mul_lo_u16 v1, 0x75, v141
	v_lshrrev_b32_e32 v146, 19, v4
	v_lshrrev_b16 v2, 8, v2
	v_mov_b32_e32 v140, 5
	v_mul_lo_u16 v3, v145, 11
	v_lshrrev_b16 v1, 8, v1
	v_lshrrev_b32_e32 v148, 19, v5
	v_mul_lo_u16 v5, v146, 11
	v_sub_nc_u16 v4, v138, v2
	v_sub_nc_u16 v147, v126, v3
	;; [unrolled: 1-line block ×3, first 2 shown]
	v_mul_u32_u24_sdwa v0, v129, v0 dst_sel:DWORD dst_unused:UNUSED_PAD src0_sel:WORD_0 src1_sel:DWORD
	v_sub_nc_u16 v149, v127, v5
	v_lshrrev_b16 v4, 1, v4
	v_lshlrev_b32_sdwa v6, v140, v147 dst_sel:DWORD dst_unused:UNUSED_PAD src0_sel:DWORD src1_sel:WORD_0
	v_lshrrev_b16 v3, 1, v3
	v_lshrrev_b32_e32 v152, 19, v0
	v_mul_lo_u16 v0, v148, 11
	s_waitcnt lgkmcnt(0)
	s_barrier
	v_and_b32_e32 v3, 0x7f, v3
	buffer_gl0_inv
	s_clause 0x1
	global_load_dwordx4 v[36:39], v6, s[12:13] offset:16
	global_load_dwordx4 v[40:43], v6, s[12:13]
	v_lshlrev_b32_sdwa v6, v140, v149 dst_sel:DWORD dst_unused:UNUSED_PAD src0_sel:DWORD src1_sel:WORD_0
	v_and_b32_e32 v4, 0x7f, v4
	v_sub_nc_u16 v153, v128, v0
	v_add_nc_u16 v0, v3, v1
	v_mul_lo_u16 v5, v152, 11
	s_clause 0x1
	global_load_dwordx4 v[84:87], v6, s[12:13]
	global_load_dwordx4 v[80:83], v6, s[12:13] offset:16
	v_add_nc_u16 v1, v4, v2
	v_lshrrev_b16 v150, 3, v0
	v_lshlrev_b32_sdwa v2, v140, v153 dst_sel:DWORD dst_unused:UNUSED_PAD src0_sel:DWORD src1_sel:WORD_0
	v_sub_nc_u16 v154, v129, v5
	s_clause 0x1
	global_load_dwordx4 v[92:95], v2, s[12:13]
	global_load_dwordx4 v[88:91], v2, s[12:13] offset:16
	v_lshrrev_b16 v151, 3, v1
	v_mul_lo_u16 v1, v150, 11
	v_lshlrev_b32_sdwa v0, v140, v154 dst_sel:DWORD dst_unused:UNUSED_PAD src0_sel:DWORD src1_sel:WORD_0
	v_mov_b32_e32 v143, 0xf83f
	v_mov_b32_e32 v139, 3
	v_mul_lo_u16 v2, v151, 11
	v_sub_nc_u16 v156, v122, v1
	s_clause 0x1
	global_load_dwordx4 v[100:103], v0, s[12:13]
	global_load_dwordx4 v[96:99], v0, s[12:13] offset:16
	v_mul_u32_u24_sdwa v144, v126, v143 dst_sel:DWORD dst_unused:UNUSED_PAD src0_sel:WORD_0 src1_sel:DWORD
	v_sub_nc_u16 v155, v138, v2
	v_lshlrev_b32_sdwa v0, v140, v156 dst_sel:DWORD dst_unused:UNUSED_PAD src0_sel:DWORD src1_sel:BYTE_0
	v_mul_u32_u24_sdwa v157, v127, v143 dst_sel:DWORD dst_unused:UNUSED_PAD src0_sel:WORD_0 src1_sel:DWORD
	v_mul_u32_u24_sdwa v159, v128, v143 dst_sel:DWORD dst_unused:UNUSED_PAD src0_sel:WORD_0 src1_sel:DWORD
	v_mov_b32_e32 v158, 0x108
	v_lshlrev_b32_sdwa v1, v140, v155 dst_sel:DWORD dst_unused:UNUSED_PAD src0_sel:DWORD src1_sel:BYTE_0
	s_clause 0x3
	global_load_dwordx4 v[16:19], v0, s[12:13]
	global_load_dwordx4 v[12:15], v0, s[12:13] offset:16
	global_load_dwordx4 v[24:27], v1, s[12:13]
	global_load_dwordx4 v[20:23], v1, s[12:13] offset:16
	ds_read2_b64 v[0:3], v131 offset1:99
	ds_read2_b64 v[28:31], v123 offset0:82 offset1:181
	ds_read2_b64 v[32:35], v130 offset0:36 offset1:135
	;; [unrolled: 1-line block ×8, first 2 shown]
	v_mul_u32_u24_e32 v161, 0x108, v148
	v_mul_u32_u24_e32 v152, 0x108, v152
	v_lshlrev_b32_sdwa v153, v139, v153 dst_sel:DWORD dst_unused:UNUSED_PAD src0_sel:DWORD src1_sel:WORD_0
	v_lshlrev_b32_sdwa v154, v139, v154 dst_sel:DWORD dst_unused:UNUSED_PAD src0_sel:DWORD src1_sel:WORD_0
	v_mul_u32_u24_sdwa v162, v129, v143 dst_sel:DWORD dst_unused:UNUSED_PAD src0_sel:WORD_0 src1_sel:DWORD
	v_lshrrev_b32_e32 v143, 21, v144
	v_lshrrev_b32_e32 v144, 21, v157
	;; [unrolled: 1-line block ×3, first 2 shown]
	v_mul_u32_u24_e32 v159, 0x108, v145
	v_mul_u32_u24_e32 v160, 0x108, v146
	v_lshlrev_b32_sdwa v147, v139, v147 dst_sel:DWORD dst_unused:UNUSED_PAD src0_sel:DWORD src1_sel:WORD_0
	v_lshlrev_b32_sdwa v149, v139, v149 dst_sel:DWORD dst_unused:UNUSED_PAD src0_sel:DWORD src1_sel:WORD_0
	v_add3_u32 v168, 0, v161, v153
	v_add3_u32 v169, 0, v152, v154
	v_mul_u32_u24_sdwa v153, v150, v158 dst_sel:DWORD dst_unused:UNUSED_PAD src0_sel:WORD_0 src1_sel:DWORD
	v_lshlrev_b32_sdwa v154, v139, v156 dst_sel:DWORD dst_unused:UNUSED_PAD src0_sel:DWORD src1_sel:BYTE_0
	v_add3_u32 v166, 0, v159, v147
	v_add3_u32 v167, 0, v160, v149
	v_mul_u32_u24_sdwa v170, v151, v158 dst_sel:DWORD dst_unused:UNUSED_PAD src0_sel:WORD_0 src1_sel:DWORD
	v_lshlrev_b32_sdwa v171, v139, v155 dst_sel:DWORD dst_unused:UNUSED_PAD src0_sel:DWORD src1_sel:BYTE_0
	v_add3_u32 v172, 0, v153, v154
	s_mov_b32 s4, 0xe8584caa
	v_mul_lo_u16 v141, 0xf9, v141
	s_mov_b32 s5, 0xbfebb67a
	s_mov_b32 s7, 0x3febb67a
	;; [unrolled: 1-line block ×3, first 2 shown]
	v_mul_lo_u16 v142, 0xf9, v142
	v_lshrrev_b16 v141, 13, v141
	v_add3_u32 v170, 0, v170, v171
	s_waitcnt vmcnt(0) lgkmcnt(0)
	s_barrier
	v_lshrrev_b16 v142, 13, v142
	v_mul_lo_u16 v145, v141, 33
	buffer_gl0_inv
	v_mul_lo_u16 v163, v143, 33
	v_mul_lo_u16 v146, v142, 33
	v_sub_nc_u16 v145, v122, v145
	v_sub_nc_u16 v146, v138, v146
	v_lshlrev_b32_sdwa v164, v140, v145 dst_sel:DWORD dst_unused:UNUSED_PAD src0_sel:DWORD src1_sel:BYTE_0
	v_lshlrev_b32_sdwa v165, v140, v146 dst_sel:DWORD dst_unused:UNUSED_PAD src0_sel:DWORD src1_sel:BYTE_0
	v_mul_f64 v[149:150], v[112:113], v[38:39]
	v_mul_f64 v[147:148], v[116:117], v[42:43]
	;; [unrolled: 1-line block ×12, first 2 shown]
	v_fma_f64 v[64:65], v[64:65], v[36:37], v[149:150]
	v_fma_f64 v[68:69], v[68:69], v[40:41], v[147:148]
	v_mul_f64 v[160:161], v[110:111], v[102:103]
	v_mul_f64 v[102:103], v[78:79], v[102:103]
	v_fma_f64 v[40:41], v[116:117], v[40:41], -v[42:43]
	v_mul_f64 v[42:43], v[106:107], v[98:99]
	v_fma_f64 v[36:37], v[112:113], v[36:37], -v[38:39]
	v_fma_f64 v[38:39], v[70:71], v[84:85], v[151:152]
	v_mul_f64 v[98:99], v[74:75], v[98:99]
	v_fma_f64 v[84:85], v[118:119], v[84:85], -v[86:87]
	v_mul_f64 v[70:71], v[28:29], v[18:19]
	v_mul_f64 v[112:113], v[32:33], v[14:15]
	;; [unrolled: 1-line block ×6, first 2 shown]
	v_fma_f64 v[66:67], v[66:67], v[80:81], v[153:154]
	v_fma_f64 v[80:81], v[114:115], v[80:81], -v[82:83]
	v_mul_f64 v[26:27], v[54:55], v[26:27]
	v_mul_f64 v[22:23], v[62:63], v[22:23]
	v_fma_f64 v[76:77], v[76:77], v[92:93], v[155:156]
	v_fma_f64 v[72:73], v[72:73], v[88:89], v[158:159]
	v_fma_f64 v[86:87], v[104:105], v[88:89], -v[90:91]
	v_fma_f64 v[82:83], v[108:109], v[92:93], -v[94:95]
	v_fma_f64 v[78:79], v[78:79], v[100:101], v[160:161]
	v_fma_f64 v[88:89], v[110:111], v[100:101], -v[102:103]
	v_add_f64 v[92:93], v[68:69], v[64:65]
	v_fma_f64 v[42:43], v[74:75], v[96:97], v[42:43]
	v_add_f64 v[94:95], v[40:41], -v[36:37]
	v_add_f64 v[90:91], v[48:49], v[68:69]
	v_fma_f64 v[74:75], v[106:107], v[96:97], -v[98:99]
	v_add_f64 v[102:103], v[10:11], v[84:85]
	v_fma_f64 v[52:53], v[52:53], v[16:17], v[70:71]
	v_fma_f64 v[60:61], v[60:61], v[12:13], v[112:113]
	v_fma_f64 v[16:17], v[28:29], v[16:17], -v[18:19]
	v_fma_f64 v[12:13], v[32:33], v[12:13], -v[14:15]
	v_fma_f64 v[54:55], v[54:55], v[24:25], v[116:117]
	v_fma_f64 v[62:63], v[62:63], v[20:21], v[147:148]
	v_add_f64 v[70:71], v[8:9], v[40:41]
	v_add_f64 v[100:101], v[84:85], -v[80:81]
	v_add_f64 v[84:85], v[84:85], v[80:81]
	v_fma_f64 v[14:15], v[30:31], v[24:25], -v[26:27]
	v_fma_f64 v[18:19], v[34:35], v[20:21], -v[22:23]
	v_add_f64 v[40:41], v[40:41], v[36:37]
	v_add_f64 v[96:97], v[50:51], v[38:39]
	;; [unrolled: 1-line block ×4, first 2 shown]
	v_add_f64 v[20:21], v[76:77], -v[72:73]
	v_add_f64 v[24:25], v[46:47], v[78:79]
	v_add_f64 v[28:29], v[78:79], v[42:43]
	;; [unrolled: 1-line block ×3, first 2 shown]
	v_add_f64 v[76:77], v[78:79], -v[42:43]
	v_add_f64 v[34:35], v[88:89], v[74:75]
	v_add_f64 v[98:99], v[38:39], v[66:67]
	v_add_f64 v[108:109], v[82:83], -v[86:87]
	v_add_f64 v[22:23], v[52:53], v[60:61]
	v_add_f64 v[110:111], v[4:5], v[82:83]
	;; [unrolled: 1-line block ×5, first 2 shown]
	v_add_f64 v[68:69], v[68:69], -v[64:65]
	v_add_f64 v[38:39], v[38:39], -v[66:67]
	v_fma_f64 v[10:11], v[84:85], -0.5, v[10:11]
	v_add_f64 v[30:31], v[88:89], -v[74:75]
	v_add_f64 v[84:85], v[14:15], v[18:19]
	v_add_f64 v[36:37], v[70:71], v[36:37]
	v_fma_f64 v[8:9], v[40:41], -0.5, v[8:9]
	v_add_f64 v[40:41], v[96:97], v[66:67]
	v_add_f64 v[66:67], v[102:103], v[80:81]
	v_add_f64 v[70:71], v[104:105], v[72:73]
	v_add_f64 v[72:73], v[56:57], v[52:53]
	v_add_f64 v[80:81], v[16:17], -v[12:13]
	v_add_f64 v[88:89], v[58:59], v[54:55]
	v_add_f64 v[24:25], v[24:25], v[42:43]
	;; [unrolled: 1-line block ×4, first 2 shown]
	v_add_f64 v[32:33], v[52:53], -v[60:61]
	v_fma_f64 v[22:23], v[22:23], -0.5, v[56:57]
	v_add_f64 v[56:57], v[14:15], -v[18:19]
	v_fma_f64 v[0:1], v[78:79], -0.5, v[0:1]
	v_fma_f64 v[6:7], v[34:35], -0.5, v[6:7]
	;; [unrolled: 1-line block ×3, first 2 shown]
	v_add_f64 v[14:15], v[2:3], v[14:15]
	v_add_f64 v[34:35], v[54:55], -v[62:63]
	v_fma_f64 v[48:49], v[92:93], -0.5, v[48:49]
	v_fma_f64 v[50:51], v[98:99], -0.5, v[50:51]
	;; [unrolled: 1-line block ×6, first 2 shown]
	v_fma_f64 v[52:53], v[68:69], s[6:7], v[8:9]
	v_fma_f64 v[54:55], v[68:69], s[4:5], v[8:9]
	v_add_f64 v[8:9], v[72:73], v[60:61]
	v_add_f64 v[64:65], v[90:91], v[64:65]
	;; [unrolled: 1-line block ×4, first 2 shown]
	v_fma_f64 v[72:73], v[38:39], s[6:7], v[10:11]
	v_add_f64 v[84:85], v[16:17], v[12:13]
	v_fma_f64 v[38:39], v[38:39], s[4:5], v[10:11]
	v_fma_f64 v[62:63], v[80:81], s[4:5], v[22:23]
	;; [unrolled: 1-line block ×6, first 2 shown]
	v_add_f64 v[86:87], v[14:15], v[18:19]
	v_fma_f64 v[26:27], v[56:57], s[6:7], v[26:27]
	v_fma_f64 v[46:47], v[94:95], s[4:5], v[48:49]
	;; [unrolled: 1-line block ×15, first 2 shown]
	ds_write2_b64 v172, v[8:9], v[62:63] offset1:11
	ds_write_b64 v172, v[22:23] offset:176
	ds_write2_b64 v170, v[60:61], v[68:69] offset1:11
	ds_write_b64 v170, v[26:27] offset:176
	;; [unrolled: 2-line block ×6, first 2 shown]
	s_waitcnt lgkmcnt(0)
	s_barrier
	buffer_gl0_inv
	ds_read2_b64 v[8:11], v131 offset1:99
	ds_read2_b64 v[32:35], v123 offset0:82 offset1:181
	ds_read2_b64 v[28:31], v130 offset0:36 offset1:135
	;; [unrolled: 1-line block ×8, first 2 shown]
	s_waitcnt lgkmcnt(0)
	s_barrier
	buffer_gl0_inv
	ds_write2_b64 v172, v[84:85], v[88:89] offset1:11
	ds_write_b64 v172, v[90:91] offset:176
	ds_write2_b64 v170, v[86:87], v[92:93] offset1:11
	ds_write_b64 v170, v[94:95] offset:176
	ds_write2_b64 v166, v[36:37], v[52:53] offset1:11
	ds_write_b64 v166, v[54:55] offset:176
	ds_write2_b64 v167, v[66:67], v[72:73] offset1:11
	ds_write_b64 v167, v[38:39] offset:176
	ds_write2_b64 v168, v[58:59], v[78:79] offset1:11
	ds_write_b64 v168, v[80:81] offset:176
	ds_write2_b64 v169, v[42:43], v[82:83] offset1:11
	ds_write_b64 v169, v[76:77] offset:176
	s_waitcnt lgkmcnt(0)
	s_barrier
	buffer_gl0_inv
	s_clause 0x3
	global_load_dwordx4 v[60:63], v164, s[12:13] offset:352
	global_load_dwordx4 v[36:39], v164, s[12:13] offset:368
	;; [unrolled: 1-line block ×4, first 2 shown]
	v_lshrrev_b32_e32 v92, 21, v162
	v_mul_lo_u16 v40, v144, 33
	v_sub_nc_u16 v88, v126, v163
	v_mul_lo_u16 v41, v157, 33
	v_mov_b32_e32 v86, 0xa57f
	v_mul_lo_u16 v42, v92, 33
	v_sub_nc_u16 v89, v127, v40
	v_lshlrev_b32_sdwa v40, v140, v88 dst_sel:DWORD dst_unused:UNUSED_PAD src0_sel:DWORD src1_sel:WORD_0
	v_sub_nc_u16 v90, v128, v41
	s_clause 0x1
	global_load_dwordx4 v[68:71], v40, s[12:13] offset:352
	global_load_dwordx4 v[48:51], v40, s[12:13] offset:368
	v_lshlrev_b32_sdwa v41, v140, v89 dst_sel:DWORD dst_unused:UNUSED_PAD src0_sel:DWORD src1_sel:WORD_0
	v_sub_nc_u16 v91, v129, v42
	v_lshlrev_b32_sdwa v40, v140, v90 dst_sel:DWORD dst_unused:UNUSED_PAD src0_sel:DWORD src1_sel:WORD_0
	v_lshlrev_b32_e32 v84, 1, v122
	v_mov_b32_e32 v85, 0
	global_load_dwordx4 v[56:59], v41, s[12:13] offset:352
	v_lshlrev_b32_sdwa v76, v140, v91 dst_sel:DWORD dst_unused:UNUSED_PAD src0_sel:DWORD src1_sel:WORD_0
	s_clause 0x4
	global_load_dwordx4 v[52:55], v41, s[12:13] offset:368
	global_load_dwordx4 v[44:47], v40, s[12:13] offset:352
	;; [unrolled: 1-line block ×5, first 2 shown]
	v_mul_u32_u24_sdwa v94, v126, v86 dst_sel:DWORD dst_unused:UNUSED_PAD src0_sel:WORD_0 src1_sel:DWORD
	v_mul_u32_u24_sdwa v95, v127, v86 dst_sel:DWORD dst_unused:UNUSED_PAD src0_sel:WORD_0 src1_sel:DWORD
	;; [unrolled: 1-line block ×3, first 2 shown]
	v_mov_b32_e32 v93, 0x318
	v_mul_u32_u24_sdwa v97, v129, v86 dst_sel:DWORD dst_unused:UNUSED_PAD src0_sel:WORD_0 src1_sel:DWORD
	v_lshlrev_b64 v[86:87], 4, v[84:85]
	v_lshrrev_b32_e32 v84, 22, v94
	v_lshrrev_b32_e32 v94, 22, v95
	;; [unrolled: 1-line block ×4, first 2 shown]
	v_mul_u32_u24_sdwa v100, v141, v93 dst_sel:DWORD dst_unused:UNUSED_PAD src0_sel:WORD_0 src1_sel:DWORD
	v_mul_u32_u24_sdwa v101, v142, v93 dst_sel:DWORD dst_unused:UNUSED_PAD src0_sel:WORD_0 src1_sel:DWORD
	v_mul_lo_u16 v97, 0x63, v94
	v_mul_u32_u24_e32 v106, 0x318, v92
	v_mul_lo_u16 v161, 0x63, v95
	ds_read2_b64 v[92:95], v123 offset0:82 offset1:181
	v_mul_u32_u24_e32 v102, 0x318, v143
	v_lshlrev_b32_sdwa v103, v139, v145 dst_sel:DWORD dst_unused:UNUSED_PAD src0_sel:DWORD src1_sel:BYTE_0
	v_lshlrev_b32_sdwa v107, v139, v146 dst_sel:DWORD dst_unused:UNUSED_PAD src0_sel:DWORD src1_sel:BYTE_0
	v_lshlrev_b32_sdwa v108, v139, v88 dst_sel:DWORD dst_unused:UNUSED_PAD src0_sel:DWORD src1_sel:WORD_0
	v_mul_lo_u16 v162, 0x63, v96
	v_sub_nc_u16 v163, v127, v97
	ds_read2_b64 v[96:99], v130 offset0:36 offset1:135
	v_mul_u32_u24_e32 v104, 0x318, v144
	v_mul_u32_u24_e32 v105, 0x318, v157
	v_lshlrev_b32_sdwa v109, v139, v89 dst_sel:DWORD dst_unused:UNUSED_PAD src0_sel:DWORD src1_sel:WORD_0
	v_lshlrev_b32_sdwa v110, v139, v90 dst_sel:DWORD dst_unused:UNUSED_PAD src0_sel:DWORD src1_sel:WORD_0
	v_lshlrev_b32_sdwa v111, v139, v91 dst_sel:DWORD dst_unused:UNUSED_PAD src0_sel:DWORD src1_sel:WORD_0
	v_add3_u32 v164, 0, v100, v103
	v_add3_u32 v165, 0, v101, v107
	ds_read2_b64 v[88:91], v134 offset0:24 offset1:123
	v_add3_u32 v166, 0, v102, v108
	ds_read2_b64 v[100:103], v132 offset0:106 offset1:205
	v_add3_u32 v167, 0, v104, v109
	v_add3_u32 v168, 0, v105, v110
	;; [unrolled: 1-line block ×3, first 2 shown]
	ds_read2_b64 v[104:107], v135 offset0:94 offset1:193
	ds_read2_b64 v[108:111], v131 offset1:99
	ds_read2_b64 v[112:115], v133 offset0:70 offset1:169
	ds_read2_b64 v[116:119], v136 offset0:48 offset1:147
	;; [unrolled: 1-line block ×3, first 2 shown]
	v_add_co_u32 v86, s0, s12, v86
	v_add_co_ci_u32_e64 v87, s0, s13, v87, s0
	v_mul_lo_u16 v84, 0x63, v84
	s_waitcnt vmcnt(0) lgkmcnt(0)
	s_barrier
	buffer_gl0_inv
	v_sub_nc_u16 v84, v126, v84
	v_mul_f64 v[143:144], v[92:93], v[62:63]
	v_mul_f64 v[62:63], v[32:33], v[62:63]
	;; [unrolled: 1-line block ×17, first 2 shown]
	v_fma_f64 v[32:33], v[32:33], v[60:61], v[143:144]
	v_fma_f64 v[60:61], v[92:93], v[60:61], -v[62:63]
	v_mul_f64 v[46:47], v[16:17], v[46:47]
	v_mul_f64 v[62:63], v[116:117], v[42:43]
	;; [unrolled: 1-line block ×3, first 2 shown]
	v_fma_f64 v[34:35], v[34:35], v[72:73], v[145:146]
	v_mul_f64 v[92:93], v[106:107], v[82:83]
	v_fma_f64 v[72:73], v[94:95], v[72:73], -v[74:75]
	v_mul_f64 v[74:75], v[18:19], v[82:83]
	v_mul_f64 v[82:83], v[118:119], v[78:79]
	;; [unrolled: 1-line block ×3, first 2 shown]
	v_fma_f64 v[28:29], v[28:29], v[36:37], v[147:148]
	v_fma_f64 v[36:37], v[96:97], v[36:37], -v[38:39]
	v_fma_f64 v[30:31], v[30:31], v[64:65], v[149:150]
	v_fma_f64 v[38:39], v[98:99], v[64:65], -v[66:67]
	;; [unrolled: 2-line block ×8, first 2 shown]
	v_add_f64 v[54:55], v[8:9], v[32:33]
	v_fma_f64 v[18:19], v[18:19], v[80:81], v[92:93]
	v_add_f64 v[62:63], v[108:109], v[60:61]
	v_fma_f64 v[42:43], v[106:107], v[80:81], -v[74:75]
	v_fma_f64 v[14:15], v[14:15], v[76:77], v[82:83]
	v_fma_f64 v[46:47], v[118:119], v[76:77], -v[78:79]
	v_add_f64 v[56:57], v[32:33], v[28:29]
	v_add_f64 v[58:59], v[60:61], -v[36:37]
	v_add_f64 v[60:61], v[60:61], v[36:37]
	v_add_f64 v[68:69], v[34:35], v[30:31]
	v_add_f64 v[70:71], v[72:73], -v[38:39]
	v_add_f64 v[74:75], v[110:111], v[72:73]
	v_add_f64 v[72:73], v[72:73], v[38:39]
	v_add_f64 v[78:79], v[24:25], v[20:21]
	v_add_f64 v[80:81], v[64:65], -v[48:49]
	v_add_f64 v[82:83], v[112:113], v[64:65]
	;; [unrolled: 4-line block ×4, first 2 shown]
	v_add_f64 v[44:45], v[44:45], v[40:41]
	v_add_f64 v[118:119], v[141:142], v[42:43]
	;; [unrolled: 1-line block ×3, first 2 shown]
	v_add_f64 v[116:117], v[42:43], -v[46:47]
	v_add_f64 v[42:43], v[42:43], v[46:47]
	v_add_f64 v[32:33], v[32:33], -v[28:29]
	v_add_f64 v[28:29], v[54:55], v[28:29]
	v_fma_f64 v[8:9], v[56:57], -0.5, v[8:9]
	v_fma_f64 v[54:55], v[60:61], -0.5, v[108:109]
	v_add_f64 v[66:67], v[10:11], v[34:35]
	v_add_f64 v[34:35], v[34:35], -v[30:31]
	v_fma_f64 v[10:11], v[68:69], -0.5, v[10:11]
	v_fma_f64 v[56:57], v[72:73], -0.5, v[110:111]
	v_add_f64 v[76:77], v[4:5], v[24:25]
	v_add_f64 v[24:25], v[24:25], -v[20:21]
	;; [unrolled: 4-line block ×5, first 2 shown]
	v_fma_f64 v[2:3], v[104:105], -0.5, v[2:3]
	v_fma_f64 v[42:43], v[42:43], -0.5, v[141:142]
	v_add_f64 v[36:37], v[62:63], v[36:37]
	v_fma_f64 v[62:63], v[58:59], s[4:5], v[8:9]
	v_fma_f64 v[8:9], v[58:59], s[6:7], v[8:9]
	v_fma_f64 v[58:59], v[32:33], s[6:7], v[54:55]
	v_fma_f64 v[54:55], v[32:33], s[4:5], v[54:55]
	v_add_f64 v[30:31], v[66:67], v[30:31]
	v_add_f64 v[38:39], v[74:75], v[38:39]
	v_fma_f64 v[32:33], v[70:71], s[4:5], v[10:11]
	v_fma_f64 v[72:73], v[34:35], s[6:7], v[56:57]
	v_fma_f64 v[10:11], v[70:71], s[6:7], v[10:11]
	v_fma_f64 v[56:57], v[34:35], s[4:5], v[56:57]
	v_add_f64 v[20:21], v[76:77], v[20:21]
	;; [unrolled: 6-line block ×5, first 2 shown]
	v_add_f64 v[46:47], v[118:119], v[46:47]
	v_fma_f64 v[70:71], v[116:117], s[4:5], v[2:3]
	v_fma_f64 v[80:81], v[18:19], s[6:7], v[42:43]
	v_fma_f64 v[2:3], v[116:117], s[6:7], v[2:3]
	v_fma_f64 v[42:43], v[18:19], s[4:5], v[42:43]
	ds_write2_b64 v164, v[28:29], v[62:63] offset1:33
	ds_write_b64 v164, v[8:9] offset:528
	ds_write2_b64 v165, v[30:31], v[32:33] offset1:33
	ds_write_b64 v165, v[10:11] offset:528
	;; [unrolled: 2-line block ×6, first 2 shown]
	s_waitcnt lgkmcnt(0)
	s_barrier
	buffer_gl0_inv
	ds_read2_b64 v[0:3], v131 offset1:99
	ds_read2_b64 v[4:7], v123 offset0:82 offset1:181
	ds_read2_b64 v[8:11], v130 offset0:36 offset1:135
	ds_read2_b64 v[12:15], v133 offset0:70 offset1:169
	ds_read2_b64 v[16:19], v134 offset0:24 offset1:123
	ds_read2_b64 v[20:23], v132 offset0:106 offset1:205
	ds_read2_b64 v[24:27], v137 offset0:140 offset1:239
	ds_read2_b64 v[28:31], v135 offset0:94 offset1:193
	ds_read2_b64 v[32:35], v136 offset0:48 offset1:147
	s_waitcnt lgkmcnt(0)
	s_barrier
	buffer_gl0_inv
	ds_write2_b64 v164, v[36:37], v[58:59] offset1:33
	ds_write_b64 v164, v[54:55] offset:528
	ds_write2_b64 v165, v[38:39], v[72:73] offset1:33
	ds_write_b64 v165, v[56:57] offset:528
	;; [unrolled: 2-line block ×6, first 2 shown]
	s_waitcnt lgkmcnt(0)
	s_barrier
	buffer_gl0_inv
	global_load_dwordx4 v[36:39], v[86:87], off offset:1408
	v_and_b32_e32 v88, 0xffff, v84
	v_sub_nc_u16 v44, v128, v161
	v_sub_nc_u16 v48, v129, v162
	v_and_b32_e32 v89, 0xffff, v163
	global_load_dwordx4 v[40:43], v[86:87], off offset:1424
	v_lshlrev_b32_e32 v49, 5, v88
	v_and_b32_e32 v90, 0xffff, v44
	v_and_b32_e32 v94, 0xffff, v48
	v_lshlrev_b32_e32 v56, 5, v89
	v_lshlrev_b32_e32 v84, 1, v138
	s_clause 0x1
	global_load_dwordx4 v[44:47], v49, s[12:13] offset:1408
	global_load_dwordx4 v[48:51], v49, s[12:13] offset:1424
	v_lshlrev_b32_e32 v64, 5, v90
	v_lshlrev_b32_e32 v72, 5, v94
	s_clause 0x5
	global_load_dwordx4 v[52:55], v56, s[12:13] offset:1408
	global_load_dwordx4 v[56:59], v56, s[12:13] offset:1424
	;; [unrolled: 1-line block ×6, first 2 shown]
	v_lshlrev_b64 v[76:77], 4, v[84:85]
	v_add_co_u32 v110, s0, 0x11e0, v86
	v_add_co_ci_u32_e64 v111, s0, 0, v87, s0
	v_lshlrev_b32_e32 v84, 1, v126
	v_add_co_u32 v76, s0, s12, v76
	v_add_co_ci_u32_e64 v77, s0, s13, v77, s0
	v_add_co_u32 v112, s0, 0x1000, v86
	v_add_co_ci_u32_e64 v113, s0, 0, v87, s0
	;; [unrolled: 2-line block ×4, first 2 shown]
	ds_read2_b64 v[76:79], v123 offset0:82 offset1:181
	v_lshlrev_b64 v[80:81], 4, v[84:85]
	v_lshl_add_u32 v165, v88, 3, 0
	v_lshl_add_u32 v166, v89, 3, 0
	ds_read2_b64 v[86:89], v134 offset0:24 offset1:123
	v_lshl_add_u32 v167, v90, 3, 0
	ds_read2_b64 v[90:93], v132 offset0:106 offset1:205
	v_add_co_u32 v84, s0, s12, v80
	v_add_co_ci_u32_e64 v164, s0, s13, v81, s0
	ds_read2_b64 v[80:83], v130 offset0:36 offset1:135
	v_lshl_add_u32 v168, v94, 3, 0
	ds_read2_b64 v[94:97], v135 offset0:94 offset1:193
	ds_read2_b64 v[98:101], v136 offset0:48 offset1:147
	ds_read2_b64 v[102:105], v131 offset1:99
	ds_read2_b64 v[106:109], v133 offset0:70 offset1:169
	v_add_co_u32 v118, s0, 0x1000, v84
	v_add_nc_u32_e32 v169, 0x1000, v165
	v_add_co_ci_u32_e64 v119, s0, 0, v164, s0
	v_add_nc_u32_e32 v170, 0x1800, v166
	v_add_nc_u32_e32 v171, 0x2400, v167
	;; [unrolled: 1-line block ×3, first 2 shown]
	s_waitcnt vmcnt(9) lgkmcnt(7)
	v_mul_f64 v[138:139], v[76:77], v[38:39]
	v_mul_f64 v[140:141], v[78:79], v[38:39]
	;; [unrolled: 1-line block ×4, first 2 shown]
	s_waitcnt vmcnt(8) lgkmcnt(4)
	v_mul_f64 v[144:145], v[80:81], v[42:43]
	v_mul_f64 v[146:147], v[8:9], v[42:43]
	v_mul_f64 v[148:149], v[82:83], v[42:43]
	v_mul_f64 v[42:43], v[10:11], v[42:43]
	s_waitcnt vmcnt(7)
	v_mul_f64 v[150:151], v[86:87], v[46:47]
	v_mul_f64 v[46:47], v[16:17], v[46:47]
	s_waitcnt vmcnt(6)
	v_mul_f64 v[152:153], v[90:91], v[50:51]
	v_mul_f64 v[50:51], v[20:21], v[50:51]
	;; [unrolled: 3-line block ×4, first 2 shown]
	s_waitcnt vmcnt(3) lgkmcnt(3)
	v_mul_f64 v[158:159], v[94:95], v[62:63]
	v_mul_f64 v[62:63], v[28:29], v[62:63]
	s_waitcnt vmcnt(2) lgkmcnt(2)
	v_mul_f64 v[160:161], v[98:99], v[66:67]
	v_mul_f64 v[66:67], v[32:33], v[66:67]
	v_fma_f64 v[138:139], v[4:5], v[36:37], v[138:139]
	v_fma_f64 v[140:141], v[6:7], v[36:37], v[140:141]
	s_waitcnt vmcnt(1)
	v_mul_f64 v[162:163], v[96:97], v[70:71]
	v_fma_f64 v[76:77], v[76:77], v[36:37], -v[142:143]
	v_fma_f64 v[36:37], v[78:79], v[36:37], -v[38:39]
	v_mul_f64 v[38:39], v[30:31], v[70:71]
	s_waitcnt vmcnt(0)
	v_mul_f64 v[70:71], v[100:101], v[74:75]
	v_mul_f64 v[74:75], v[34:35], v[74:75]
	v_fma_f64 v[8:9], v[8:9], v[40:41], v[144:145]
	v_fma_f64 v[78:79], v[80:81], v[40:41], -v[146:147]
	v_fma_f64 v[10:11], v[10:11], v[40:41], v[148:149]
	v_fma_f64 v[40:41], v[82:83], v[40:41], -v[42:43]
	;; [unrolled: 2-line block ×8, first 2 shown]
	ds_read2_b64 v[4:7], v137 offset0:140 offset1:239
	v_fma_f64 v[30:31], v[30:31], v[68:69], v[162:163]
	v_add_f64 v[56:57], v[0:1], v[138:139]
	v_fma_f64 v[38:39], v[96:97], v[68:69], -v[38:39]
	v_fma_f64 v[34:35], v[34:35], v[72:73], v[70:71]
	v_fma_f64 v[54:55], v[100:101], v[72:73], -v[74:75]
	v_add_f64 v[58:59], v[138:139], v[8:9]
	v_add_f64 v[64:65], v[76:77], v[78:79]
	;; [unrolled: 1-line block ×3, first 2 shown]
	v_add_f64 v[72:73], v[36:37], -v[40:41]
	s_waitcnt lgkmcnt(2)
	v_add_f64 v[74:75], v[104:105], v[36:37]
	v_add_f64 v[36:37], v[36:37], v[40:41]
	;; [unrolled: 1-line block ×3, first 2 shown]
	v_add_f64 v[86:87], v[42:43], -v[44:45]
	s_waitcnt lgkmcnt(1)
	v_add_f64 v[88:89], v[106:107], v[42:43]
	v_add_f64 v[42:43], v[42:43], v[44:45]
	;; [unrolled: 1-line block ×3, first 2 shown]
	v_add_f64 v[94:95], v[46:47], -v[48:49]
	v_add_f64 v[96:97], v[108:109], v[46:47]
	v_add_f64 v[46:47], v[46:47], v[48:49]
	v_add_f64 v[66:67], v[138:139], -v[8:9]
	v_add_f64 v[100:101], v[28:29], v[32:33]
	v_add_f64 v[138:139], v[50:51], -v[52:53]
	s_waitcnt lgkmcnt(0)
	v_add_f64 v[142:143], v[4:5], v[50:51]
	v_add_f64 v[50:51], v[50:51], v[52:53]
	v_add_f64 v[60:61], v[76:77], -v[78:79]
	v_add_f64 v[62:63], v[102:103], v[76:77]
	v_add_f64 v[68:69], v[2:3], v[140:141]
	v_add_f64 v[76:77], v[140:141], -v[10:11]
	v_add_f64 v[140:141], v[30:31], v[34:35]
	v_add_f64 v[146:147], v[38:39], -v[54:55]
	v_add_f64 v[148:149], v[6:7], v[38:39]
	v_add_f64 v[38:39], v[38:39], v[54:55]
	v_fma_f64 v[0:1], v[58:59], -0.5, v[0:1]
	v_fma_f64 v[58:59], v[64:65], -0.5, v[102:103]
	;; [unrolled: 1-line block ×4, first 2 shown]
	v_add_f64 v[80:81], v[12:13], v[16:17]
	v_add_f64 v[16:17], v[16:17], -v[20:21]
	v_fma_f64 v[12:13], v[82:83], -0.5, v[12:13]
	v_fma_f64 v[42:43], v[42:43], -0.5, v[106:107]
	v_add_f64 v[90:91], v[14:15], v[18:19]
	v_add_f64 v[18:19], v[18:19], -v[22:23]
	v_fma_f64 v[14:15], v[92:93], -0.5, v[14:15]
	v_fma_f64 v[46:47], v[46:47], -0.5, v[108:109]
	;; [unrolled: 4-line block ×3, first 2 shown]
	v_add_f64 v[144:145], v[26:27], v[30:31]
	v_add_f64 v[30:31], v[30:31], -v[34:35]
	v_fma_f64 v[26:27], v[140:141], -0.5, v[26:27]
	v_add_f64 v[8:9], v[56:57], v[8:9]
	v_add_f64 v[56:57], v[62:63], v[78:79]
	v_fma_f64 v[6:7], v[38:39], -0.5, v[6:7]
	v_add_f64 v[50:51], v[148:149], v[54:55]
	v_fma_f64 v[38:39], v[60:61], s[4:5], v[0:1]
	v_fma_f64 v[54:55], v[66:67], s[6:7], v[58:59]
	v_add_f64 v[10:11], v[68:69], v[10:11]
	v_add_f64 v[40:41], v[74:75], v[40:41]
	v_fma_f64 v[0:1], v[60:61], s[6:7], v[0:1]
	v_fma_f64 v[58:59], v[66:67], s[4:5], v[58:59]
	;; [unrolled: 1-line block ×6, first 2 shown]
	v_add_f64 v[20:21], v[80:81], v[20:21]
	v_add_f64 v[44:45], v[88:89], v[44:45]
	v_fma_f64 v[62:63], v[86:87], s[4:5], v[12:13]
	v_fma_f64 v[72:73], v[16:17], s[6:7], v[42:43]
	v_fma_f64 v[12:13], v[86:87], s[6:7], v[12:13]
	v_fma_f64 v[42:43], v[16:17], s[4:5], v[42:43]
	v_add_f64 v[22:23], v[90:91], v[22:23]
	v_add_f64 v[48:49], v[96:97], v[48:49]
	v_fma_f64 v[64:65], v[94:95], s[4:5], v[14:15]
	v_fma_f64 v[74:75], v[18:19], s[6:7], v[46:47]
	v_fma_f64 v[14:15], v[94:95], s[6:7], v[14:15]
	v_fma_f64 v[46:47], v[18:19], s[4:5], v[46:47]
	;; [unrolled: 6-line block ×3, first 2 shown]
	v_add_f64 v[34:35], v[144:145], v[34:35]
	v_fma_f64 v[70:71], v[146:147], s[4:5], v[26:27]
	v_fma_f64 v[80:81], v[30:31], s[6:7], v[6:7]
	;; [unrolled: 1-line block ×4, first 2 shown]
	s_barrier
	buffer_gl0_inv
	ds_write2_b64 v131, v[8:9], v[38:39] offset1:99
	ds_write2_b64 v133, v[0:1], v[10:11] offset0:70 offset1:169
	ds_write2_b64 v137, v[60:61], v[2:3] offset0:140 offset1:239
	;; [unrolled: 1-line block ×3, first 2 shown]
	ds_write_b64 v165, v[12:13] offset:6336
	ds_write2_b64 v170, v[22:23], v[64:65] offset0:123 offset1:222
	ds_write_b64 v166, v[14:15] offset:8712
	ds_write2_b64 v171, v[32:33], v[68:69] offset0:36 offset1:135
	;; [unrolled: 2-line block ×3, first 2 shown]
	ds_write_b64 v168, v[26:27] offset:13464
	s_waitcnt lgkmcnt(0)
	s_barrier
	buffer_gl0_inv
	ds_read2_b64 v[0:3], v131 offset1:99
	ds_read2_b64 v[4:7], v123 offset0:82 offset1:181
	ds_read2_b64 v[8:11], v130 offset0:36 offset1:135
	;; [unrolled: 1-line block ×8, first 2 shown]
	s_waitcnt lgkmcnt(0)
	s_barrier
	buffer_gl0_inv
	ds_write2_b64 v131, v[56:57], v[54:55] offset1:99
	ds_write2_b64 v133, v[58:59], v[40:41] offset0:70 offset1:169
	ds_write2_b64 v137, v[66:67], v[36:37] offset0:140 offset1:239
	;; [unrolled: 1-line block ×3, first 2 shown]
	ds_write_b64 v165, v[42:43] offset:6336
	ds_write2_b64 v170, v[48:49], v[74:75] offset0:123 offset1:222
	ds_write_b64 v166, v[46:47] offset:8712
	ds_write2_b64 v171, v[52:53], v[76:77] offset0:36 offset1:135
	;; [unrolled: 2-line block ×3, first 2 shown]
	ds_write_b64 v168, v[82:83] offset:13464
	v_add_co_u32 v52, s0, 0x11e0, v84
	v_add_co_ci_u32_e64 v53, s0, 0, v164, s0
	s_waitcnt lgkmcnt(0)
	s_barrier
	buffer_gl0_inv
	s_clause 0x5
	global_load_dwordx4 v[36:39], v[112:113], off offset:480
	global_load_dwordx4 v[40:43], v[110:111], off offset:16
	;; [unrolled: 1-line block ×6, first 2 shown]
	ds_read2_b64 v[63:66], v123 offset0:82 offset1:181
	ds_read2_b64 v[67:70], v130 offset0:36 offset1:135
	;; [unrolled: 1-line block ×4, first 2 shown]
	ds_read2_b64 v[79:82], v131 offset1:99
	ds_read2_b64 v[86:89], v133 offset0:70 offset1:169
	ds_read2_b64 v[90:93], v137 offset0:140 offset1:239
	;; [unrolled: 1-line block ×4, first 2 shown]
	v_lshl_add_u32 v54, v122, 3, 0
	v_add_nc_u32_e32 v52, 0x2000, v131
	v_add_nc_u32_e32 v53, 0x2c00, v131
	s_waitcnt vmcnt(0) lgkmcnt(0)
	s_barrier
	v_add_nc_u32_e32 v54, 0x1400, v54
	buffer_gl0_inv
	v_mul_f64 v[83:84], v[63:64], v[38:39]
	v_mul_f64 v[102:103], v[4:5], v[38:39]
	;; [unrolled: 1-line block ×24, first 2 shown]
	v_fma_f64 v[4:5], v[4:5], v[36:37], v[83:84]
	v_fma_f64 v[63:64], v[63:64], v[36:37], -v[102:103]
	v_fma_f64 v[8:9], v[8:9], v[40:41], v[104:105]
	v_fma_f64 v[67:68], v[67:68], v[40:41], -v[106:107]
	v_fma_f64 v[6:7], v[6:7], v[44:45], v[108:109]
	v_fma_f64 v[10:11], v[10:11], v[48:49], v[112:113]
	v_fma_f64 v[16:17], v[16:17], v[55:56], v[116:117]
	v_fma_f64 v[20:21], v[20:21], v[59:60], v[138:139]
	v_fma_f64 v[18:19], v[18:19], v[36:37], v[142:143]
	v_fma_f64 v[22:23], v[22:23], v[40:41], v[144:145]
	v_fma_f64 v[28:29], v[28:29], v[44:45], v[146:147]
	v_fma_f64 v[32:33], v[32:33], v[48:49], v[148:149]
	v_fma_f64 v[30:31], v[30:31], v[55:56], v[150:151]
	v_fma_f64 v[34:35], v[34:35], v[59:60], v[152:153]
	v_fma_f64 v[65:66], v[65:66], v[44:45], -v[110:111]
	v_fma_f64 v[69:70], v[69:70], v[48:49], -v[114:115]
	;; [unrolled: 1-line block ×10, first 2 shown]
	v_add_f64 v[50:51], v[4:5], v[8:9]
	v_add_f64 v[55:56], v[63:64], -v[67:68]
	v_add_f64 v[57:58], v[79:80], v[63:64]
	v_add_f64 v[59:60], v[63:64], v[67:68]
	;; [unrolled: 1-line block ×11, first 2 shown]
	v_add_f64 v[73:74], v[65:66], -v[69:70]
	v_add_f64 v[65:66], v[65:66], v[69:70]
	v_add_f64 v[96:97], v[71:72], -v[75:76]
	v_add_f64 v[98:99], v[86:87], v[71:72]
	v_add_f64 v[71:72], v[71:72], v[75:76]
	v_add_f64 v[104:105], v[36:37], -v[38:39]
	v_add_f64 v[106:107], v[88:89], v[36:37]
	v_add_f64 v[36:37], v[36:37], v[38:39]
	v_add_f64 v[114:115], v[40:41], -v[42:43]
	v_add_f64 v[116:117], v[90:91], v[40:41]
	v_add_f64 v[40:41], v[40:41], v[42:43]
	v_add_f64 v[138:139], v[44:45], -v[46:47]
	v_add_f64 v[140:141], v[92:93], v[44:45]
	v_add_f64 v[44:45], v[44:45], v[46:47]
	v_add_f64 v[118:119], v[26:27], v[30:31]
	v_fma_f64 v[0:1], v[50:51], -0.5, v[0:1]
	v_fma_f64 v[2:3], v[63:64], -0.5, v[2:3]
	v_add_f64 v[83:84], v[12:13], v[16:17]
	v_fma_f64 v[12:13], v[94:95], -0.5, v[12:13]
	v_add_f64 v[100:101], v[14:15], v[18:19]
	v_fma_f64 v[14:15], v[102:103], -0.5, v[14:15]
	v_fma_f64 v[24:25], v[108:109], -0.5, v[24:25]
	;; [unrolled: 1-line block ×3, first 2 shown]
	v_add_f64 v[4:5], v[4:5], -v[8:9]
	v_add_f64 v[6:7], v[6:7], -v[10:11]
	;; [unrolled: 1-line block ×6, first 2 shown]
	v_add_f64 v[8:9], v[48:49], v[8:9]
	v_fma_f64 v[48:49], v[59:60], -0.5, v[79:80]
	v_add_f64 v[10:11], v[61:62], v[10:11]
	v_fma_f64 v[50:51], v[65:66], -0.5, v[81:82]
	v_fma_f64 v[63:64], v[71:72], -0.5, v[86:87]
	;; [unrolled: 1-line block ×5, first 2 shown]
	v_add_f64 v[32:33], v[112:113], v[32:33]
	v_add_f64 v[34:35], v[118:119], v[34:35]
	v_fma_f64 v[65:66], v[55:56], s[4:5], v[0:1]
	v_fma_f64 v[0:1], v[55:56], s[6:7], v[0:1]
	;; [unrolled: 1-line block ×4, first 2 shown]
	v_add_f64 v[20:21], v[83:84], v[20:21]
	v_add_f64 v[57:58], v[57:58], v[67:68]
	v_fma_f64 v[67:68], v[96:97], s[4:5], v[12:13]
	v_add_f64 v[22:23], v[100:101], v[22:23]
	v_fma_f64 v[12:13], v[96:97], s[6:7], v[12:13]
	;; [unrolled: 2-line block ×3, first 2 shown]
	v_fma_f64 v[71:72], v[114:115], s[4:5], v[24:25]
	v_fma_f64 v[14:15], v[104:105], s[6:7], v[14:15]
	;; [unrolled: 1-line block ×5, first 2 shown]
	v_add_f64 v[61:62], v[98:99], v[75:76]
	v_fma_f64 v[75:76], v[4:5], s[6:7], v[48:49]
	v_fma_f64 v[77:78], v[4:5], s[4:5], v[48:49]
	;; [unrolled: 1-line block ×12, first 2 shown]
	ds_write2_b64 v131, v[8:9], v[10:11] offset1:99
	ds_write2_b64 v135, v[32:33], v[34:35] offset0:94 offset1:193
	ds_write2_b64 v123, v[0:1], v[2:3] offset0:82 offset1:181
	;; [unrolled: 1-line block ×8, first 2 shown]
	s_waitcnt lgkmcnt(0)
	s_barrier
	buffer_gl0_inv
	ds_read2_b64 v[12:15], v131 offset1:99
	ds_read2_b64 v[24:27], v134 offset0:123 offset1:222
	ds_read2_b64 v[8:11], v133 offset0:70 offset1:169
	;; [unrolled: 1-line block ×7, first 2 shown]
	ds_read_b64 v[48:49], v131 offset:4752
	ds_read_b64 v[50:51], v131 offset:13464
	v_add_f64 v[38:39], v[106:107], v[38:39]
	v_add_f64 v[42:43], v[116:117], v[42:43]
	v_add_f64 v[46:47], v[140:141], v[46:47]
	s_waitcnt lgkmcnt(0)
	s_barrier
	buffer_gl0_inv
	ds_write2_b64 v131, v[57:58], v[59:60] offset1:99
	ds_write2_b64 v123, v[77:78], v[81:82] offset0:82 offset1:181
	ds_write2_b64 v133, v[61:62], v[75:76] offset0:70 offset1:169
	ds_write2_b64 v137, v[79:80], v[83:84] offset0:140 offset1:239
	ds_write2_b64 v134, v[63:64], v[38:39] offset0:24 offset1:123
	ds_write2_b64 v130, v[86:87], v[88:89] offset0:36 offset1:135
	ds_write2_b64 v135, v[42:43], v[46:47] offset0:94 offset1:193
	ds_write2_b64 v132, v[90:91], v[36:37] offset0:106 offset1:205
	ds_write2_b64 v136, v[40:41], v[44:45] offset0:48 offset1:147
	s_waitcnt lgkmcnt(0)
	s_barrier
	buffer_gl0_inv
	s_and_saveexec_b32 s0, vcc_lo
	s_cbranch_execz .LBB0_21
; %bb.20:
	v_add_nc_u32_e32 v84, 0x318, v122
	v_add_nc_u32_e32 v34, 0x2b5, v122
	v_mov_b32_e32 v35, v85
	v_add_nc_u32_e32 v36, 0x252, v122
	v_mov_b32_e32 v37, v85
	v_lshlrev_b64 v[32:33], 4, v[84:85]
	v_mov_b32_e32 v130, v85
	v_mov_b32_e32 v123, v85
	v_add_nc_u32_e32 v94, 0x800, v131
	v_add_nc_u32_e32 v117, 0x63, v122
	;; [unrolled: 1-line block ×3, first 2 shown]
	v_add_co_u32 v38, vcc_lo, s12, v32
	v_add_co_ci_u32_e32 v39, vcc_lo, s13, v33, vcc_lo
	v_lshlrev_b64 v[32:33], 4, v[34:35]
	v_add_co_u32 v34, vcc_lo, 0x3000, v38
	v_add_co_ci_u32_e32 v35, vcc_lo, 0, v39, vcc_lo
	v_mul_lo_u32 v114, s3, v124
	v_add_co_u32 v38, vcc_lo, s12, v32
	v_add_co_ci_u32_e32 v39, vcc_lo, s13, v33, vcc_lo
	v_lshlrev_b64 v[32:33], 4, v[36:37]
	v_add_co_u32 v36, vcc_lo, 0x3000, v38
	v_add_co_ci_u32_e32 v37, vcc_lo, 0, v39, vcc_lo
	v_mul_lo_u32 v115, s2, v125
	v_add_co_u32 v38, vcc_lo, s12, v32
	v_add_co_ci_u32_e32 v39, vcc_lo, s13, v33, vcc_lo
	v_lshlrev_b64 v[32:33], 4, v[129:130]
	v_mov_b32_e32 v129, v85
	v_add_co_u32 v38, vcc_lo, 0x3000, v38
	v_add_co_ci_u32_e32 v39, vcc_lo, 0, v39, vcc_lo
	v_add_co_u32 v32, vcc_lo, s12, v32
	v_lshlrev_b64 v[55:56], 4, v[128:129]
	v_mov_b32_e32 v128, v85
	v_add_co_ci_u32_e32 v33, vcc_lo, s13, v33, vcc_lo
	v_add_co_u32 v32, vcc_lo, 0x3000, v32
	v_lshlrev_b64 v[57:58], 4, v[127:128]
	v_add_co_ci_u32_e32 v33, vcc_lo, 0, v33, vcc_lo
	v_add_co_u32 v65, vcc_lo, s12, v55
	v_add_co_ci_u32_e32 v66, vcc_lo, s13, v56, vcc_lo
	v_add_co_u32 v57, vcc_lo, s12, v57
	v_add_co_ci_u32_e32 v58, vcc_lo, s13, v58, vcc_lo
	v_mov_b32_e32 v127, v85
	v_lshlrev_b64 v[55:56], 4, v[122:123]
	v_add_co_u32 v67, vcc_lo, 0x3000, v57
	v_add_co_ci_u32_e32 v68, vcc_lo, 0, v58, vcc_lo
	v_lshlrev_b64 v[57:58], 4, v[126:127]
	v_add_co_u32 v59, vcc_lo, s12, v55
	v_add_co_ci_u32_e32 v60, vcc_lo, s13, v56, vcc_lo
	s_clause 0x3
	global_load_dwordx4 v[44:47], v[34:35], off offset:1792
	global_load_dwordx4 v[40:43], v[36:37], off offset:1792
	;; [unrolled: 1-line block ×4, first 2 shown]
	v_add_co_u32 v57, vcc_lo, s12, v57
	v_add_co_ci_u32_e32 v58, vcc_lo, s13, v58, vcc_lo
	v_add_co_u32 v55, vcc_lo, 0x3800, v59
	v_add_co_ci_u32_e32 v56, vcc_lo, 0, v60, vcc_lo
	;; [unrolled: 2-line block ×4, first 2 shown]
	s_clause 0x1
	global_load_dwordx4 v[55:58], v[55:56], off offset:1328
	global_load_dwordx4 v[59:62], v[59:60], off offset:1792
	v_add_co_u32 v71, vcc_lo, 0x3000, v65
	v_add_co_ci_u32_e32 v72, vcc_lo, 0, v66, vcc_lo
	s_clause 0x2
	global_load_dwordx4 v[63:66], v[63:64], off offset:1792
	global_load_dwordx4 v[67:70], v[67:68], off offset:1792
	;; [unrolled: 1-line block ×3, first 2 shown]
	v_mad_u64_u32 v[83:84], null, s2, v124, 0
	v_add_nc_u32_e32 v102, 0x400, v131
	ds_read2_b64 v[75:78], v54 offset0:53 offset1:152
	ds_read2_b64 v[79:82], v53 offset0:77 offset1:176
	ds_read_b64 v[53:54], v131 offset:13464
	ds_read_b64 v[110:111], v131 offset:4752
	ds_read2_b64 v[86:89], v52 offset0:65 offset1:164
	ds_read2_b64 v[90:93], v131 offset1:99
	v_add_nc_u32_e32 v52, 0x1800, v131
	v_mul_hi_u32 v116, 0x931b4b91, v122
	v_add_nc_u32_e32 v124, 0x2b5, v122
	ds_read2_b64 v[94:97], v94 offset0:140 offset1:239
	ds_read2_b64 v[98:101], v98 offset0:7 offset1:106
	;; [unrolled: 1-line block ×4, first 2 shown]
	v_mul_hi_u32 v52, 0x931b4b91, v117
	v_add_nc_u32_e32 v118, 0xc6, v122
	v_add_nc_u32_e32 v123, 0x252, v122
	v_add3_u32 v84, v84, v115, v114
	v_mul_hi_u32 v115, 0x931b4b91, v124
	v_lshrrev_b32_e32 v116, 9, v116
	v_add_nc_u32_e32 v119, 0x129, v122
	v_mul_hi_u32 v126, 0x931b4b91, v118
	v_lshrrev_b32_e32 v52, 9, v52
	v_mul_hi_u32 v114, 0x931b4b91, v123
	v_lshlrev_b64 v[83:84], 4, v[83:84]
	v_mul_u32_u24_e32 v116, 0x37b, v116
	v_lshrrev_b32_e32 v140, 9, v115
	v_mul_u32_u24_e32 v115, 0x37b, v52
	v_lshlrev_b64 v[112:113], 4, v[120:121]
	v_add_nc_u32_e32 v120, 0x18c, v122
	v_add_nc_u32_e32 v121, 0x1ef, v122
	v_mul_hi_u32 v127, 0x931b4b91, v119
	v_add_co_u32 v83, vcc_lo, s10, v83
	v_lshrrev_b32_e32 v126, 9, v126
	v_lshrrev_b32_e32 v136, 9, v114
	v_sub_nc_u32_e32 v114, v122, v116
	v_add_co_ci_u32_e32 v84, vcc_lo, s11, v84, vcc_lo
	v_sub_nc_u32_e32 v115, v117, v115
	v_add_nc_u32_e32 v125, 0x318, v122
	v_mul_hi_u32 v128, 0x931b4b91, v120
	v_mul_hi_u32 v129, 0x931b4b91, v121
	v_add_co_u32 v164, vcc_lo, v83, v112
	v_lshrrev_b32_e32 v127, 9, v127
	v_mul_u32_u24_e32 v116, 0x37b, v126
	v_lshlrev_b32_e32 v114, 4, v114
	v_add_co_ci_u32_e32 v165, vcc_lo, v84, v113, vcc_lo
	v_mad_u32_u24 v84, 0x6f6, v52, v115
	v_mul_hi_u32 v130, 0x931b4b91, v125
	v_lshrrev_b32_e32 v128, 9, v128
	v_lshrrev_b32_e32 v132, 9, v129
	v_mul_u32_u24_e32 v122, 0x37b, v127
	v_sub_nc_u32_e32 v135, v118, v116
	v_add_co_u32 v112, vcc_lo, v164, v114
	v_lshlrev_b64 v[114:115], 4, v[84:85]
	v_add_nc_u32_e32 v84, 0x37b, v84
	v_lshrrev_b32_e32 v162, 9, v130
	v_mul_u32_u24_e32 v129, 0x37b, v128
	v_mul_u32_u24_e32 v130, 0x37b, v132
	v_sub_nc_u32_e32 v137, v119, v122
	v_lshlrev_b64 v[118:119], 4, v[84:85]
	v_mad_u32_u24 v84, 0x6f6, v126, v135
	v_mul_u32_u24_e32 v131, 0x37b, v136
	v_sub_nc_u32_e32 v129, v120, v129
	v_sub_nc_u32_e32 v138, v121, v130
	v_mul_u32_u24_e32 v133, 0x37b, v140
	v_lshlrev_b64 v[120:121], 4, v[84:85]
	v_add_nc_u32_e32 v84, 0x37b, v84
	v_mul_u32_u24_e32 v134, 0x37b, v162
	v_sub_nc_u32_e32 v139, v123, v131
	v_sub_nc_u32_e32 v141, v124, v133
	v_add_co_ci_u32_e32 v113, vcc_lo, 0, v165, vcc_lo
	v_lshlrev_b64 v[122:123], 4, v[84:85]
	v_mad_u32_u24 v84, 0x6f6, v127, v137
	v_sub_nc_u32_e32 v163, v125, v134
	v_add_co_u32 v116, vcc_lo, 0x3000, v112
	v_add_co_ci_u32_e32 v117, vcc_lo, 0, v113, vcc_lo
	v_lshlrev_b64 v[124:125], 4, v[84:85]
	v_add_nc_u32_e32 v84, 0x37b, v84
	v_add_co_u32 v114, vcc_lo, v164, v114
	v_add_co_ci_u32_e32 v115, vcc_lo, v165, v115, vcc_lo
	v_lshlrev_b64 v[126:127], 4, v[84:85]
	v_mad_u32_u24 v84, 0x6f6, v128, v129
	v_add_co_u32 v118, vcc_lo, v164, v118
	v_add_co_ci_u32_e32 v119, vcc_lo, v165, v119, vcc_lo
	v_lshlrev_b64 v[128:129], 4, v[84:85]
	v_add_nc_u32_e32 v84, 0x37b, v84
	v_add_co_u32 v120, vcc_lo, v164, v120
	v_add_co_ci_u32_e32 v121, vcc_lo, v165, v121, vcc_lo
	v_lshlrev_b64 v[130:131], 4, v[84:85]
	v_mad_u32_u24 v84, 0x6f6, v132, v138
	;; [unrolled: 8-line block ×4, first 2 shown]
	v_add_co_u32 v130, vcc_lo, v164, v130
	v_add_co_ci_u32_e32 v131, vcc_lo, v165, v131, vcc_lo
	v_add_co_u32 v132, vcc_lo, v164, v132
	v_lshlrev_b64 v[140:141], 4, v[84:85]
	v_add_nc_u32_e32 v84, 0x37b, v84
	v_add_co_ci_u32_e32 v133, vcc_lo, v165, v133, vcc_lo
	v_add_co_u32 v134, vcc_lo, v164, v134
	v_add_co_ci_u32_e32 v135, vcc_lo, v165, v135, vcc_lo
	v_lshlrev_b64 v[160:161], 4, v[84:85]
	v_mad_u32_u24 v84, 0x6f6, v162, v163
	v_add_co_u32 v136, vcc_lo, v164, v136
	v_add_co_ci_u32_e32 v137, vcc_lo, v165, v137, vcc_lo
	v_add_co_u32 v138, vcc_lo, v164, v138
	v_add_co_ci_u32_e32 v139, vcc_lo, v165, v139, vcc_lo
	s_waitcnt vmcnt(8)
	v_mul_f64 v[142:143], v[50:51], v[46:47]
	s_waitcnt lgkmcnt(7)
	v_mul_f64 v[46:47], v[53:54], v[46:47]
	s_waitcnt vmcnt(7)
	v_mul_f64 v[144:145], v[30:31], v[42:43]
	v_mul_f64 v[42:43], v[81:82], v[42:43]
	s_waitcnt vmcnt(6)
	v_mul_f64 v[146:147], v[28:29], v[38:39]
	;; [unrolled: 3-line block ×3, first 2 shown]
	s_waitcnt lgkmcnt(2)
	v_mul_f64 v[34:35], v[100:101], v[34:35]
	s_waitcnt vmcnt(4)
	v_mul_f64 v[150:151], v[26:27], v[57:58]
	s_waitcnt vmcnt(3)
	v_mul_f64 v[152:153], v[24:25], v[61:62]
	s_waitcnt lgkmcnt(0)
	v_mul_f64 v[61:62], v[106:107], v[61:62]
	v_mul_f64 v[57:58], v[108:109], v[57:58]
	v_fma_f64 v[52:53], v[44:45], v[53:54], -v[142:143]
	s_waitcnt vmcnt(2)
	v_mul_f64 v[154:155], v[20:21], v[65:66]
	v_mul_f64 v[65:66], v[86:87], v[65:66]
	s_waitcnt vmcnt(1)
	v_mul_f64 v[156:157], v[22:23], v[69:70]
	v_mul_f64 v[69:70], v[88:89], v[69:70]
	s_waitcnt vmcnt(0)
	v_mul_f64 v[158:159], v[16:17], v[73:74]
	v_mul_f64 v[73:74], v[98:99], v[73:74]
	v_fma_f64 v[44:45], v[50:51], v[44:45], v[46:47]
	v_fma_f64 v[30:31], v[30:31], v[40:41], v[42:43]
	v_fma_f64 v[50:51], v[36:37], v[79:80], -v[146:147]
	v_fma_f64 v[79:80], v[28:29], v[36:37], v[38:39]
	v_fma_f64 v[46:47], v[40:41], v[81:82], -v[144:145]
	v_add_co_u32 v81, vcc_lo, v164, v140
	v_add_co_ci_u32_e32 v82, vcc_lo, v165, v141, vcc_lo
	v_fma_f64 v[28:29], v[55:56], v[108:109], -v[150:151]
	v_fma_f64 v[36:37], v[59:60], v[106:107], -v[152:153]
	v_fma_f64 v[24:25], v[24:25], v[59:60], v[61:62]
	v_fma_f64 v[38:39], v[26:27], v[55:56], v[57:58]
	v_fma_f64 v[40:41], v[63:64], v[86:87], -v[154:155]
	v_fma_f64 v[42:43], v[20:21], v[63:64], v[65:66]
	v_fma_f64 v[54:55], v[67:68], v[88:89], -v[156:157]
	;; [unrolled: 2-line block ×4, first 2 shown]
	v_fma_f64 v[64:65], v[18:19], v[32:33], v[34:35]
	v_add_f64 v[20:21], v[4:5], -v[30:31]
	v_add_f64 v[16:17], v[6:7], -v[44:45]
	;; [unrolled: 1-line block ×6, first 2 shown]
	v_lshlrev_b64 v[86:87], 4, v[84:85]
	v_add_nc_u32_e32 v84, 0x37b, v84
	v_add_co_u32 v79, vcc_lo, v164, v160
	v_add_f64 v[26:27], v[92:93], -v[28:29]
	v_add_f64 v[30:31], v[90:91], -v[36:37]
	;; [unrolled: 1-line block ×12, first 2 shown]
	v_lshlrev_b64 v[83:84], 4, v[84:85]
	v_fma_f64 v[54:55], v[6:7], 2.0, -v[16:17]
	v_fma_f64 v[6:7], v[75:76], 2.0, -v[22:23]
	;; [unrolled: 1-line block ×3, first 2 shown]
	v_add_co_ci_u32_e32 v80, vcc_lo, v165, v161, vcc_lo
	v_fma_f64 v[56:57], v[77:78], 2.0, -v[18:19]
	v_fma_f64 v[60:61], v[92:93], 2.0, -v[26:27]
	;; [unrolled: 1-line block ×15, first 2 shown]
	v_add_co_u32 v48, vcc_lo, v164, v86
	v_add_co_ci_u32_e32 v49, vcc_lo, v165, v87, vcc_lo
	v_add_co_u32 v74, vcc_lo, v164, v83
	v_add_co_ci_u32_e32 v75, vcc_lo, v165, v84, vcc_lo
	global_store_dwordx4 v[116:117], v[28:31], off offset:1968
	global_store_dwordx4 v[112:113], v[62:65], off
	global_store_dwordx4 v[114:115], v[58:61], off
	;; [unrolled: 1-line block ×17, first 2 shown]
.LBB0_21:
	s_endpgm
	.section	.rodata,"a",@progbits
	.p2align	6, 0x0
	.amdhsa_kernel fft_rtc_back_len1782_factors_11_3_3_3_3_2_wgs_99_tpt_99_halfLds_dp_op_CI_CI_unitstride_sbrr_dirReg
		.amdhsa_group_segment_fixed_size 0
		.amdhsa_private_segment_fixed_size 0
		.amdhsa_kernarg_size 104
		.amdhsa_user_sgpr_count 6
		.amdhsa_user_sgpr_private_segment_buffer 1
		.amdhsa_user_sgpr_dispatch_ptr 0
		.amdhsa_user_sgpr_queue_ptr 0
		.amdhsa_user_sgpr_kernarg_segment_ptr 1
		.amdhsa_user_sgpr_dispatch_id 0
		.amdhsa_user_sgpr_flat_scratch_init 0
		.amdhsa_user_sgpr_private_segment_size 0
		.amdhsa_wavefront_size32 1
		.amdhsa_uses_dynamic_stack 0
		.amdhsa_system_sgpr_private_segment_wavefront_offset 0
		.amdhsa_system_sgpr_workgroup_id_x 1
		.amdhsa_system_sgpr_workgroup_id_y 0
		.amdhsa_system_sgpr_workgroup_id_z 0
		.amdhsa_system_sgpr_workgroup_info 0
		.amdhsa_system_vgpr_workitem_id 0
		.amdhsa_next_free_vgpr 180
		.amdhsa_next_free_sgpr 40
		.amdhsa_reserve_vcc 1
		.amdhsa_reserve_flat_scratch 0
		.amdhsa_float_round_mode_32 0
		.amdhsa_float_round_mode_16_64 0
		.amdhsa_float_denorm_mode_32 3
		.amdhsa_float_denorm_mode_16_64 3
		.amdhsa_dx10_clamp 1
		.amdhsa_ieee_mode 1
		.amdhsa_fp16_overflow 0
		.amdhsa_workgroup_processor_mode 1
		.amdhsa_memory_ordered 1
		.amdhsa_forward_progress 0
		.amdhsa_shared_vgpr_count 0
		.amdhsa_exception_fp_ieee_invalid_op 0
		.amdhsa_exception_fp_denorm_src 0
		.amdhsa_exception_fp_ieee_div_zero 0
		.amdhsa_exception_fp_ieee_overflow 0
		.amdhsa_exception_fp_ieee_underflow 0
		.amdhsa_exception_fp_ieee_inexact 0
		.amdhsa_exception_int_div_zero 0
	.end_amdhsa_kernel
	.text
.Lfunc_end0:
	.size	fft_rtc_back_len1782_factors_11_3_3_3_3_2_wgs_99_tpt_99_halfLds_dp_op_CI_CI_unitstride_sbrr_dirReg, .Lfunc_end0-fft_rtc_back_len1782_factors_11_3_3_3_3_2_wgs_99_tpt_99_halfLds_dp_op_CI_CI_unitstride_sbrr_dirReg
                                        ; -- End function
	.section	.AMDGPU.csdata,"",@progbits
; Kernel info:
; codeLenInByte = 17116
; NumSgprs: 42
; NumVgprs: 180
; ScratchSize: 0
; MemoryBound: 1
; FloatMode: 240
; IeeeMode: 1
; LDSByteSize: 0 bytes/workgroup (compile time only)
; SGPRBlocks: 5
; VGPRBlocks: 22
; NumSGPRsForWavesPerEU: 42
; NumVGPRsForWavesPerEU: 180
; Occupancy: 5
; WaveLimiterHint : 1
; COMPUTE_PGM_RSRC2:SCRATCH_EN: 0
; COMPUTE_PGM_RSRC2:USER_SGPR: 6
; COMPUTE_PGM_RSRC2:TRAP_HANDLER: 0
; COMPUTE_PGM_RSRC2:TGID_X_EN: 1
; COMPUTE_PGM_RSRC2:TGID_Y_EN: 0
; COMPUTE_PGM_RSRC2:TGID_Z_EN: 0
; COMPUTE_PGM_RSRC2:TIDIG_COMP_CNT: 0
	.text
	.p2alignl 6, 3214868480
	.fill 48, 4, 3214868480
	.type	__hip_cuid_f8fb30d10e4f9963,@object ; @__hip_cuid_f8fb30d10e4f9963
	.section	.bss,"aw",@nobits
	.globl	__hip_cuid_f8fb30d10e4f9963
__hip_cuid_f8fb30d10e4f9963:
	.byte	0                               ; 0x0
	.size	__hip_cuid_f8fb30d10e4f9963, 1

	.ident	"AMD clang version 19.0.0git (https://github.com/RadeonOpenCompute/llvm-project roc-6.4.0 25133 c7fe45cf4b819c5991fe208aaa96edf142730f1d)"
	.section	".note.GNU-stack","",@progbits
	.addrsig
	.addrsig_sym __hip_cuid_f8fb30d10e4f9963
	.amdgpu_metadata
---
amdhsa.kernels:
  - .args:
      - .actual_access:  read_only
        .address_space:  global
        .offset:         0
        .size:           8
        .value_kind:     global_buffer
      - .offset:         8
        .size:           8
        .value_kind:     by_value
      - .actual_access:  read_only
        .address_space:  global
        .offset:         16
        .size:           8
        .value_kind:     global_buffer
      - .actual_access:  read_only
        .address_space:  global
        .offset:         24
        .size:           8
        .value_kind:     global_buffer
      - .actual_access:  read_only
        .address_space:  global
        .offset:         32
        .size:           8
        .value_kind:     global_buffer
      - .offset:         40
        .size:           8
        .value_kind:     by_value
      - .actual_access:  read_only
        .address_space:  global
        .offset:         48
        .size:           8
        .value_kind:     global_buffer
      - .actual_access:  read_only
        .address_space:  global
        .offset:         56
        .size:           8
        .value_kind:     global_buffer
      - .offset:         64
        .size:           4
        .value_kind:     by_value
      - .actual_access:  read_only
        .address_space:  global
        .offset:         72
        .size:           8
        .value_kind:     global_buffer
      - .actual_access:  read_only
        .address_space:  global
        .offset:         80
        .size:           8
        .value_kind:     global_buffer
      - .actual_access:  read_only
        .address_space:  global
        .offset:         88
        .size:           8
        .value_kind:     global_buffer
      - .actual_access:  write_only
        .address_space:  global
        .offset:         96
        .size:           8
        .value_kind:     global_buffer
    .group_segment_fixed_size: 0
    .kernarg_segment_align: 8
    .kernarg_segment_size: 104
    .language:       OpenCL C
    .language_version:
      - 2
      - 0
    .max_flat_workgroup_size: 99
    .name:           fft_rtc_back_len1782_factors_11_3_3_3_3_2_wgs_99_tpt_99_halfLds_dp_op_CI_CI_unitstride_sbrr_dirReg
    .private_segment_fixed_size: 0
    .sgpr_count:     42
    .sgpr_spill_count: 0
    .symbol:         fft_rtc_back_len1782_factors_11_3_3_3_3_2_wgs_99_tpt_99_halfLds_dp_op_CI_CI_unitstride_sbrr_dirReg.kd
    .uniform_work_group_size: 1
    .uses_dynamic_stack: false
    .vgpr_count:     180
    .vgpr_spill_count: 0
    .wavefront_size: 32
    .workgroup_processor_mode: 1
amdhsa.target:   amdgcn-amd-amdhsa--gfx1030
amdhsa.version:
  - 1
  - 2
...

	.end_amdgpu_metadata
